;; amdgpu-corpus repo=ROCm/rocFFT kind=compiled arch=gfx1201 opt=O3
	.text
	.amdgcn_target "amdgcn-amd-amdhsa--gfx1201"
	.amdhsa_code_object_version 6
	.protected	fft_rtc_back_len1014_factors_13_6_13_wgs_156_tpt_78_sp_op_CI_CI_unitstride_sbrr_R2C_dirReg ; -- Begin function fft_rtc_back_len1014_factors_13_6_13_wgs_156_tpt_78_sp_op_CI_CI_unitstride_sbrr_R2C_dirReg
	.globl	fft_rtc_back_len1014_factors_13_6_13_wgs_156_tpt_78_sp_op_CI_CI_unitstride_sbrr_R2C_dirReg
	.p2align	8
	.type	fft_rtc_back_len1014_factors_13_6_13_wgs_156_tpt_78_sp_op_CI_CI_unitstride_sbrr_R2C_dirReg,@function
fft_rtc_back_len1014_factors_13_6_13_wgs_156_tpt_78_sp_op_CI_CI_unitstride_sbrr_R2C_dirReg: ; @fft_rtc_back_len1014_factors_13_6_13_wgs_156_tpt_78_sp_op_CI_CI_unitstride_sbrr_R2C_dirReg
; %bb.0:
	s_clause 0x2
	s_load_b128 s[8:11], s[0:1], 0x0
	s_load_b128 s[4:7], s[0:1], 0x58
	;; [unrolled: 1-line block ×3, first 2 shown]
	v_mul_u32_u24_e32 v1, 0x349, v0
	v_mov_b32_e32 v3, 0
	s_delay_alu instid0(VALU_DEP_2) | instskip(SKIP_2) | instid1(VALU_DEP_4)
	v_lshrrev_b32_e32 v7, 16, v1
	v_mov_b32_e32 v1, 0
	v_mov_b32_e32 v2, 0
	;; [unrolled: 1-line block ×3, first 2 shown]
	s_delay_alu instid0(VALU_DEP_4) | instskip(SKIP_2) | instid1(VALU_DEP_1)
	v_lshl_add_u32 v5, ttmp9, 1, v7
	s_wait_kmcnt 0x0
	v_cmp_lt_u64_e64 s2, s[10:11], 2
	s_and_b32 vcc_lo, exec_lo, s2
	s_cbranch_vccnz .LBB0_8
; %bb.1:
	s_load_b64 s[2:3], s[0:1], 0x10
	v_mov_b32_e32 v1, 0
	v_mov_b32_e32 v2, 0
	s_add_nc_u64 s[16:17], s[14:15], 8
	s_add_nc_u64 s[18:19], s[12:13], 8
	s_mov_b64 s[20:21], 1
	s_delay_alu instid0(VALU_DEP_1)
	v_dual_mov_b32 v29, v2 :: v_dual_mov_b32 v28, v1
	s_wait_kmcnt 0x0
	s_add_nc_u64 s[22:23], s[2:3], 8
	s_mov_b32 s3, 0
.LBB0_2:                                ; =>This Inner Loop Header: Depth=1
	s_load_b64 s[24:25], s[22:23], 0x0
                                        ; implicit-def: $vgpr32_vgpr33
	s_mov_b32 s2, exec_lo
	s_wait_kmcnt 0x0
	v_or_b32_e32 v4, s25, v6
	s_delay_alu instid0(VALU_DEP_1)
	v_cmpx_ne_u64_e32 0, v[3:4]
	s_wait_alu 0xfffe
	s_xor_b32 s26, exec_lo, s2
	s_cbranch_execz .LBB0_4
; %bb.3:                                ;   in Loop: Header=BB0_2 Depth=1
	s_cvt_f32_u32 s2, s24
	s_cvt_f32_u32 s27, s25
	s_sub_nc_u64 s[30:31], 0, s[24:25]
	s_wait_alu 0xfffe
	s_delay_alu instid0(SALU_CYCLE_1) | instskip(SKIP_1) | instid1(SALU_CYCLE_2)
	s_fmamk_f32 s2, s27, 0x4f800000, s2
	s_wait_alu 0xfffe
	v_s_rcp_f32 s2, s2
	s_delay_alu instid0(TRANS32_DEP_1) | instskip(SKIP_1) | instid1(SALU_CYCLE_2)
	s_mul_f32 s2, s2, 0x5f7ffffc
	s_wait_alu 0xfffe
	s_mul_f32 s27, s2, 0x2f800000
	s_wait_alu 0xfffe
	s_delay_alu instid0(SALU_CYCLE_2) | instskip(SKIP_1) | instid1(SALU_CYCLE_2)
	s_trunc_f32 s27, s27
	s_wait_alu 0xfffe
	s_fmamk_f32 s2, s27, 0xcf800000, s2
	s_cvt_u32_f32 s29, s27
	s_wait_alu 0xfffe
	s_delay_alu instid0(SALU_CYCLE_1) | instskip(SKIP_1) | instid1(SALU_CYCLE_2)
	s_cvt_u32_f32 s28, s2
	s_wait_alu 0xfffe
	s_mul_u64 s[34:35], s[30:31], s[28:29]
	s_wait_alu 0xfffe
	s_mul_hi_u32 s37, s28, s35
	s_mul_i32 s36, s28, s35
	s_mul_hi_u32 s2, s28, s34
	s_mul_i32 s33, s29, s34
	s_wait_alu 0xfffe
	s_add_nc_u64 s[36:37], s[2:3], s[36:37]
	s_mul_hi_u32 s27, s29, s34
	s_mul_hi_u32 s38, s29, s35
	s_add_co_u32 s2, s36, s33
	s_wait_alu 0xfffe
	s_add_co_ci_u32 s2, s37, s27
	s_mul_i32 s34, s29, s35
	s_add_co_ci_u32 s35, s38, 0
	s_wait_alu 0xfffe
	s_add_nc_u64 s[34:35], s[2:3], s[34:35]
	s_wait_alu 0xfffe
	v_add_co_u32 v4, s2, s28, s34
	s_delay_alu instid0(VALU_DEP_1) | instskip(SKIP_1) | instid1(VALU_DEP_1)
	s_cmp_lg_u32 s2, 0
	s_add_co_ci_u32 s29, s29, s35
	v_readfirstlane_b32 s28, v4
	s_wait_alu 0xfffe
	s_delay_alu instid0(VALU_DEP_1)
	s_mul_u64 s[30:31], s[30:31], s[28:29]
	s_wait_alu 0xfffe
	s_mul_hi_u32 s35, s28, s31
	s_mul_i32 s34, s28, s31
	s_mul_hi_u32 s2, s28, s30
	s_mul_i32 s33, s29, s30
	s_wait_alu 0xfffe
	s_add_nc_u64 s[34:35], s[2:3], s[34:35]
	s_mul_hi_u32 s27, s29, s30
	s_mul_hi_u32 s28, s29, s31
	s_wait_alu 0xfffe
	s_add_co_u32 s2, s34, s33
	s_add_co_ci_u32 s2, s35, s27
	s_mul_i32 s30, s29, s31
	s_add_co_ci_u32 s31, s28, 0
	s_wait_alu 0xfffe
	s_add_nc_u64 s[30:31], s[2:3], s[30:31]
	s_wait_alu 0xfffe
	v_add_co_u32 v4, s2, v4, s30
	s_delay_alu instid0(VALU_DEP_1) | instskip(SKIP_1) | instid1(VALU_DEP_1)
	s_cmp_lg_u32 s2, 0
	s_add_co_ci_u32 s2, s29, s31
	v_mul_hi_u32 v14, v5, v4
	s_wait_alu 0xfffe
	v_mad_co_u64_u32 v[8:9], null, v5, s2, 0
	v_mad_co_u64_u32 v[10:11], null, v6, v4, 0
	;; [unrolled: 1-line block ×3, first 2 shown]
	s_delay_alu instid0(VALU_DEP_3) | instskip(SKIP_1) | instid1(VALU_DEP_4)
	v_add_co_u32 v4, vcc_lo, v14, v8
	s_wait_alu 0xfffd
	v_add_co_ci_u32_e32 v8, vcc_lo, 0, v9, vcc_lo
	s_delay_alu instid0(VALU_DEP_2) | instskip(SKIP_1) | instid1(VALU_DEP_2)
	v_add_co_u32 v4, vcc_lo, v4, v10
	s_wait_alu 0xfffd
	v_add_co_ci_u32_e32 v4, vcc_lo, v8, v11, vcc_lo
	s_wait_alu 0xfffd
	v_add_co_ci_u32_e32 v8, vcc_lo, 0, v13, vcc_lo
	s_delay_alu instid0(VALU_DEP_2) | instskip(SKIP_1) | instid1(VALU_DEP_2)
	v_add_co_u32 v4, vcc_lo, v4, v12
	s_wait_alu 0xfffd
	v_add_co_ci_u32_e32 v10, vcc_lo, 0, v8, vcc_lo
	s_delay_alu instid0(VALU_DEP_2) | instskip(SKIP_1) | instid1(VALU_DEP_3)
	v_mul_lo_u32 v11, s25, v4
	v_mad_co_u64_u32 v[8:9], null, s24, v4, 0
	v_mul_lo_u32 v12, s24, v10
	s_delay_alu instid0(VALU_DEP_2) | instskip(NEXT) | instid1(VALU_DEP_2)
	v_sub_co_u32 v8, vcc_lo, v5, v8
	v_add3_u32 v9, v9, v12, v11
	s_delay_alu instid0(VALU_DEP_1) | instskip(SKIP_1) | instid1(VALU_DEP_1)
	v_sub_nc_u32_e32 v11, v6, v9
	s_wait_alu 0xfffd
	v_subrev_co_ci_u32_e64 v11, s2, s25, v11, vcc_lo
	v_add_co_u32 v12, s2, v4, 2
	s_wait_alu 0xf1ff
	v_add_co_ci_u32_e64 v13, s2, 0, v10, s2
	v_sub_co_u32 v14, s2, v8, s24
	v_sub_co_ci_u32_e32 v9, vcc_lo, v6, v9, vcc_lo
	s_wait_alu 0xf1ff
	v_subrev_co_ci_u32_e64 v11, s2, 0, v11, s2
	s_delay_alu instid0(VALU_DEP_3) | instskip(NEXT) | instid1(VALU_DEP_3)
	v_cmp_le_u32_e32 vcc_lo, s24, v14
	v_cmp_eq_u32_e64 s2, s25, v9
	s_wait_alu 0xfffd
	v_cndmask_b32_e64 v14, 0, -1, vcc_lo
	v_cmp_le_u32_e32 vcc_lo, s25, v11
	s_wait_alu 0xfffd
	v_cndmask_b32_e64 v15, 0, -1, vcc_lo
	v_cmp_le_u32_e32 vcc_lo, s24, v8
	;; [unrolled: 3-line block ×3, first 2 shown]
	s_wait_alu 0xfffd
	v_cndmask_b32_e64 v16, 0, -1, vcc_lo
	v_cmp_eq_u32_e32 vcc_lo, s25, v11
	s_wait_alu 0xf1ff
	s_delay_alu instid0(VALU_DEP_2)
	v_cndmask_b32_e64 v8, v16, v8, s2
	s_wait_alu 0xfffd
	v_cndmask_b32_e32 v11, v15, v14, vcc_lo
	v_add_co_u32 v14, vcc_lo, v4, 1
	s_wait_alu 0xfffd
	v_add_co_ci_u32_e32 v15, vcc_lo, 0, v10, vcc_lo
	s_delay_alu instid0(VALU_DEP_3) | instskip(SKIP_2) | instid1(VALU_DEP_3)
	v_cmp_ne_u32_e32 vcc_lo, 0, v11
	s_wait_alu 0xfffd
	v_cndmask_b32_e32 v11, v14, v12, vcc_lo
	v_cndmask_b32_e32 v9, v15, v13, vcc_lo
	v_cmp_ne_u32_e32 vcc_lo, 0, v8
	s_wait_alu 0xfffd
	s_delay_alu instid0(VALU_DEP_2)
	v_dual_cndmask_b32 v32, v4, v11 :: v_dual_cndmask_b32 v33, v10, v9
.LBB0_4:                                ;   in Loop: Header=BB0_2 Depth=1
	s_wait_alu 0xfffe
	s_and_not1_saveexec_b32 s2, s26
	s_cbranch_execz .LBB0_6
; %bb.5:                                ;   in Loop: Header=BB0_2 Depth=1
	v_cvt_f32_u32_e32 v4, s24
	s_sub_co_i32 s26, 0, s24
	v_mov_b32_e32 v33, v3
	s_delay_alu instid0(VALU_DEP_2) | instskip(NEXT) | instid1(TRANS32_DEP_1)
	v_rcp_iflag_f32_e32 v4, v4
	v_mul_f32_e32 v4, 0x4f7ffffe, v4
	s_delay_alu instid0(VALU_DEP_1) | instskip(SKIP_1) | instid1(VALU_DEP_1)
	v_cvt_u32_f32_e32 v4, v4
	s_wait_alu 0xfffe
	v_mul_lo_u32 v8, s26, v4
	s_delay_alu instid0(VALU_DEP_1) | instskip(NEXT) | instid1(VALU_DEP_1)
	v_mul_hi_u32 v8, v4, v8
	v_add_nc_u32_e32 v4, v4, v8
	s_delay_alu instid0(VALU_DEP_1) | instskip(NEXT) | instid1(VALU_DEP_1)
	v_mul_hi_u32 v4, v5, v4
	v_mul_lo_u32 v8, v4, s24
	s_delay_alu instid0(VALU_DEP_1) | instskip(NEXT) | instid1(VALU_DEP_1)
	v_sub_nc_u32_e32 v8, v5, v8
	v_subrev_nc_u32_e32 v10, s24, v8
	v_cmp_le_u32_e32 vcc_lo, s24, v8
	s_wait_alu 0xfffd
	s_delay_alu instid0(VALU_DEP_2) | instskip(NEXT) | instid1(VALU_DEP_1)
	v_dual_cndmask_b32 v8, v8, v10 :: v_dual_add_nc_u32 v9, 1, v4
	v_cndmask_b32_e32 v4, v4, v9, vcc_lo
	s_delay_alu instid0(VALU_DEP_2) | instskip(NEXT) | instid1(VALU_DEP_2)
	v_cmp_le_u32_e32 vcc_lo, s24, v8
	v_add_nc_u32_e32 v9, 1, v4
	s_wait_alu 0xfffd
	s_delay_alu instid0(VALU_DEP_1)
	v_cndmask_b32_e32 v32, v4, v9, vcc_lo
.LBB0_6:                                ;   in Loop: Header=BB0_2 Depth=1
	s_wait_alu 0xfffe
	s_or_b32 exec_lo, exec_lo, s2
	v_mul_lo_u32 v4, v33, s24
	s_delay_alu instid0(VALU_DEP_2)
	v_mul_lo_u32 v10, v32, s25
	s_load_b64 s[26:27], s[18:19], 0x0
	v_mad_co_u64_u32 v[8:9], null, v32, s24, 0
	s_load_b64 s[24:25], s[16:17], 0x0
	s_add_nc_u64 s[20:21], s[20:21], 1
	s_add_nc_u64 s[16:17], s[16:17], 8
	s_wait_alu 0xfffe
	v_cmp_ge_u64_e64 s2, s[20:21], s[10:11]
	s_add_nc_u64 s[18:19], s[18:19], 8
	s_add_nc_u64 s[22:23], s[22:23], 8
	v_add3_u32 v4, v9, v10, v4
	v_sub_co_u32 v5, vcc_lo, v5, v8
	s_wait_alu 0xfffd
	s_delay_alu instid0(VALU_DEP_2) | instskip(SKIP_2) | instid1(VALU_DEP_1)
	v_sub_co_ci_u32_e32 v4, vcc_lo, v6, v4, vcc_lo
	s_and_b32 vcc_lo, exec_lo, s2
	s_wait_kmcnt 0x0
	v_mul_lo_u32 v6, s26, v4
	v_mul_lo_u32 v8, s27, v5
	v_mad_co_u64_u32 v[1:2], null, s26, v5, v[1:2]
	v_mul_lo_u32 v4, s24, v4
	v_mul_lo_u32 v9, s25, v5
	v_mad_co_u64_u32 v[28:29], null, s24, v5, v[28:29]
	s_delay_alu instid0(VALU_DEP_4) | instskip(NEXT) | instid1(VALU_DEP_2)
	v_add3_u32 v2, v8, v2, v6
	v_add3_u32 v29, v9, v29, v4
	s_wait_alu 0xfffe
	s_cbranch_vccnz .LBB0_9
; %bb.7:                                ;   in Loop: Header=BB0_2 Depth=1
	v_dual_mov_b32 v5, v32 :: v_dual_mov_b32 v6, v33
	s_branch .LBB0_2
.LBB0_8:
	v_dual_mov_b32 v29, v2 :: v_dual_mov_b32 v28, v1
	v_dual_mov_b32 v33, v6 :: v_dual_mov_b32 v32, v5
.LBB0_9:
	s_load_b64 s[0:1], s[0:1], 0x28
	v_and_b32_e32 v4, 1, v7
	v_mul_hi_u32 v3, 0x3483484, v0
	s_lshl_b64 s[10:11], s[10:11], 3
                                        ; implicit-def: $vgpr30
                                        ; implicit-def: $vgpr35
                                        ; implicit-def: $vgpr34
	s_wait_kmcnt 0x0
	v_cmp_gt_u64_e32 vcc_lo, s[0:1], v[32:33]
	v_cmp_le_u64_e64 s1, s[0:1], v[32:33]
	v_cmp_eq_u32_e64 s0, 1, v4
	s_delay_alu instid0(VALU_DEP_2)
	s_and_saveexec_b32 s2, s1
	s_wait_alu 0xfffe
	s_xor_b32 s1, exec_lo, s2
; %bb.10:
	v_mul_u32_u24_e32 v1, 0x4e, v3
                                        ; implicit-def: $vgpr3
	s_delay_alu instid0(VALU_DEP_1) | instskip(NEXT) | instid1(VALU_DEP_1)
	v_sub_nc_u32_e32 v30, v0, v1
                                        ; implicit-def: $vgpr0
                                        ; implicit-def: $vgpr1_vgpr2
	v_add_nc_u32_e32 v35, 0x4e, v30
	v_add_nc_u32_e32 v34, 0x9c, v30
; %bb.11:
	s_wait_alu 0xfffe
	s_or_saveexec_b32 s1, s1
	v_cndmask_b32_e64 v4, 0, 0x3f7, s0
	s_add_nc_u64 s[2:3], s[14:15], s[10:11]
	s_delay_alu instid0(VALU_DEP_1)
	v_lshlrev_b32_e32 v48, 3, v4
	s_wait_alu 0xfffe
	s_xor_b32 exec_lo, exec_lo, s1
	s_cbranch_execz .LBB0_13
; %bb.12:
	s_add_nc_u64 s[10:11], s[12:13], s[10:11]
	v_lshlrev_b64_e32 v[1:2], 3, v[1:2]
	s_load_b64 s[10:11], s[10:11], 0x0
	s_wait_kmcnt 0x0
	v_mul_lo_u32 v6, s11, v32
	v_mul_lo_u32 v7, s10, v33
	v_mad_co_u64_u32 v[4:5], null, s10, v32, 0
	s_delay_alu instid0(VALU_DEP_1) | instskip(SKIP_1) | instid1(VALU_DEP_2)
	v_add3_u32 v5, v5, v7, v6
	v_mul_u32_u24_e32 v6, 0x4e, v3
	v_lshlrev_b64_e32 v[3:4], 3, v[4:5]
	s_delay_alu instid0(VALU_DEP_2) | instskip(NEXT) | instid1(VALU_DEP_1)
	v_sub_nc_u32_e32 v30, v0, v6
	v_lshlrev_b32_e32 v26, 3, v30
	s_delay_alu instid0(VALU_DEP_3) | instskip(SKIP_1) | instid1(VALU_DEP_4)
	v_add_co_u32 v0, s0, s4, v3
	s_wait_alu 0xf1ff
	v_add_co_ci_u32_e64 v3, s0, s5, v4, s0
	v_add_nc_u32_e32 v35, 0x4e, v30
	s_delay_alu instid0(VALU_DEP_3) | instskip(SKIP_1) | instid1(VALU_DEP_3)
	v_add_co_u32 v0, s0, v0, v1
	s_wait_alu 0xf1ff
	v_add_co_ci_u32_e64 v1, s0, v3, v2, s0
	v_add_nc_u32_e32 v34, 0x9c, v30
	s_delay_alu instid0(VALU_DEP_3) | instskip(SKIP_1) | instid1(VALU_DEP_3)
	v_add_co_u32 v0, s0, v0, v26
	s_wait_alu 0xf1ff
	v_add_co_ci_u32_e64 v1, s0, 0, v1, s0
	s_clause 0xc
	global_load_b64 v[2:3], v[0:1], off
	global_load_b64 v[4:5], v[0:1], off offset:624
	global_load_b64 v[6:7], v[0:1], off offset:1248
	;; [unrolled: 1-line block ×12, first 2 shown]
	v_add3_u32 v26, 0, v48, v26
	s_delay_alu instid0(VALU_DEP_1)
	v_add_nc_u32_e32 v27, 0x800, v26
	v_add_nc_u32_e32 v31, 0xc00, v26
	;; [unrolled: 1-line block ×4, first 2 shown]
	s_wait_loadcnt 0xb
	ds_store_2addr_b64 v26, v[2:3], v[4:5] offset1:78
	s_wait_loadcnt 0x9
	ds_store_2addr_b64 v26, v[6:7], v[8:9] offset0:156 offset1:234
	s_wait_loadcnt 0x7
	ds_store_2addr_b64 v27, v[10:11], v[12:13] offset0:56 offset1:134
	;; [unrolled: 2-line block ×5, first 2 shown]
	s_wait_loadcnt 0x0
	ds_store_b64 v26, v[0:1] offset:7488
.LBB0_13:
	s_or_b32 exec_lo, exec_lo, s1
	v_add_nc_u32_e32 v44, 0, v48
	v_lshlrev_b32_e32 v31, 3, v30
	s_load_b64 s[2:3], s[2:3], 0x0
	global_wb scope:SCOPE_SE
	s_wait_dscnt 0x0
	s_wait_kmcnt 0x0
	s_barrier_signal -1
	s_barrier_wait -1
	v_add_nc_u32_e32 v45, v44, v31
	v_add3_u32 v46, 0, v31, v48
	global_inv scope:SCOPE_SE
	v_cmp_gt_u32_e64 s0, 13, v30
	ds_load_b64 v[26:27], v45
	ds_load_2addr_b64 v[8:11], v46 offset0:78 offset1:156
	s_wait_dscnt 0x0
	v_dual_add_f32 v37, v27, v9 :: v_dual_add_nc_u32 v0, 0x400, v46
	v_add_nc_u32_e32 v16, 0x1800, v46
	s_delay_alu instid0(VALU_DEP_2)
	v_dual_add_f32 v36, v26, v8 :: v_dual_add_f32 v37, v37, v11
	ds_load_2addr_b64 v[12:15], v16 offset0:90 offset1:168
	ds_load_2addr_b64 v[18:21], v0 offset0:106 offset1:184
	v_add_f32_e32 v36, v36, v10
	v_add_nc_u32_e32 v49, 0x800, v46
	s_wait_dscnt 0x1
	v_dual_add_f32 v41, v15, v9 :: v_dual_add_nc_u32 v38, 0x1400, v46
	v_dual_sub_f32 v40, v9, v15 :: v_dual_add_f32 v39, v14, v8
	s_wait_dscnt 0x0
	v_dual_sub_f32 v42, v8, v14 :: v_dual_add_f32 v9, v37, v19
	s_delay_alu instid0(VALU_DEP_3) | instskip(NEXT) | instid1(VALU_DEP_3)
	v_dual_mul_f32 v37, 0x3f62ad3f, v41 :: v_dual_add_f32 v8, v36, v18
	v_mul_f32_e32 v43, 0xbf52af12, v40
	v_add_nc_u32_e32 v17, 0x1000, v46
	s_delay_alu instid0(VALU_DEP_4) | instskip(NEXT) | instid1(VALU_DEP_4)
	v_dual_mul_f32 v50, 0xbf7e222b, v40 :: v_dual_add_f32 v9, v9, v21
	v_add_f32_e32 v8, v8, v20
	ds_load_2addr_b64 v[0:3], v49 offset0:134 offset1:212
	ds_load_2addr_b64 v[4:7], v17 offset0:34 offset1:112
	;; [unrolled: 1-line block ×3, first 2 shown]
	v_mul_f32_e32 v47, 0x3f116cb1, v41
	v_mul_f32_e32 v36, 0xbeedf032, v40
	v_dual_mul_f32 v52, 0xbf6f5d39, v40 :: v_dual_add_f32 v67, v12, v10
	global_wb scope:SCOPE_SE
	s_wait_dscnt 0x0
	s_barrier_signal -1
	s_barrier_wait -1
	global_inv scope:SCOPE_SE
	v_sub_f32_e32 v10, v10, v12
	v_dual_add_f32 v8, v8, v0 :: v_dual_mul_f32 v51, 0x3df6dbef, v41
	v_dual_add_f32 v9, v9, v1 :: v_dual_mul_f32 v54, 0xbf29c268, v40
	v_mul_f32_e32 v40, 0xbe750f2a, v40
	s_delay_alu instid0(VALU_DEP_3) | instskip(NEXT) | instid1(VALU_DEP_3)
	v_dual_add_f32 v8, v8, v2 :: v_dual_mul_f32 v53, 0xbeb58ec6, v41
	v_dual_add_f32 v9, v9, v3 :: v_dual_fmamk_f32 v56, v42, 0x3eedf032, v37
	s_delay_alu instid0(VALU_DEP_3) | instskip(NEXT) | instid1(VALU_DEP_3)
	v_fmamk_f32 v64, v39, 0xbf788fa5, v40
	v_dual_add_f32 v8, v8, v4 :: v_dual_fmamk_f32 v55, v39, 0x3f62ad3f, v36
	s_delay_alu instid0(VALU_DEP_3) | instskip(SKIP_1) | instid1(VALU_DEP_3)
	v_dual_add_f32 v9, v9, v5 :: v_dual_fmamk_f32 v58, v42, 0x3f52af12, v47
	v_fma_f32 v36, 0x3f62ad3f, v39, -v36
	v_dual_add_f32 v8, v8, v6 :: v_dual_fmamk_f32 v59, v39, 0x3df6dbef, v50
	s_delay_alu instid0(VALU_DEP_3) | instskip(NEXT) | instid1(VALU_DEP_3)
	v_add_f32_e32 v9, v9, v7
	v_dual_fmamk_f32 v57, v39, 0x3f116cb1, v43 :: v_dual_add_f32 v36, v26, v36
	s_delay_alu instid0(VALU_DEP_3) | instskip(SKIP_3) | instid1(VALU_DEP_4)
	v_add_f32_e32 v8, v8, v22
	v_fmac_f32_e32 v47, 0xbf52af12, v42
	v_fma_f32 v43, 0x3f116cb1, v39, -v43
	v_dual_fmamk_f32 v62, v42, 0x3f6f5d39, v53 :: v_dual_add_f32 v9, v9, v23
	v_dual_add_f32 v8, v8, v24 :: v_dual_fmamk_f32 v61, v39, 0xbeb58ec6, v52
	v_fma_f32 v50, 0x3df6dbef, v39, -v50
	s_delay_alu instid0(VALU_DEP_4) | instskip(NEXT) | instid1(VALU_DEP_3)
	v_add_f32_e32 v43, v26, v43
	v_dual_add_f32 v9, v9, v25 :: v_dual_add_f32 v8, v8, v12
	v_add_f32_e32 v57, v26, v57
	v_dual_fmac_f32 v37, 0xbeedf032, v42 :: v_dual_add_f32 v56, v27, v56
	v_dual_add_f32 v55, v26, v55 :: v_dual_add_f32 v58, v27, v58
	s_delay_alu instid0(VALU_DEP_4) | instskip(SKIP_4) | instid1(VALU_DEP_4)
	v_add_f32_e32 v8, v8, v14
	v_mul_f32_e32 v14, 0xbf3f9e67, v41
	v_dual_add_f32 v50, v26, v50 :: v_dual_add_f32 v9, v9, v13
	v_add_f32_e32 v61, v26, v61
	v_mul_f32_e32 v41, 0xbf788fa5, v41
	v_fmamk_f32 v63, v42, 0x3f29c268, v14
	v_dual_fmac_f32 v14, 0xbf29c268, v42 :: v_dual_sub_f32 v65, v11, v13
	v_dual_fmamk_f32 v60, v42, 0x3f7e222b, v51 :: v_dual_add_f32 v37, v27, v37
	v_fmac_f32_e32 v51, 0xbf7e222b, v42
	v_fma_f32 v52, 0xbeb58ec6, v39, -v52
	v_add_f32_e32 v59, v26, v59
	v_add_f32_e32 v9, v9, v15
	v_dual_fmac_f32 v53, 0xbf6f5d39, v42 :: v_dual_add_f32 v64, v26, v64
	v_dual_add_f32 v15, v27, v62 :: v_dual_fmamk_f32 v66, v42, 0x3e750f2a, v41
	v_fmamk_f32 v62, v39, 0xbf3f9e67, v54
	v_fma_f32 v54, 0xbf3f9e67, v39, -v54
	v_add_f32_e32 v14, v27, v14
	v_dual_add_f32 v63, v27, v63 :: v_dual_mul_f32 v68, 0xbf52af12, v65
	v_add_f32_e32 v11, v13, v11
	v_fma_f32 v13, 0xbf788fa5, v39, -v40
	v_fmac_f32_e32 v41, 0xbe750f2a, v42
	v_dual_add_f32 v47, v27, v47 :: v_dual_add_f32 v52, v26, v52
	v_add_f32_e32 v60, v27, v60
	v_dual_add_f32 v51, v27, v51 :: v_dual_add_f32 v62, v26, v62
	v_dual_add_f32 v53, v27, v53 :: v_dual_add_f32 v54, v26, v54
	v_add_f32_e32 v13, v26, v13
	v_add_f32_e32 v26, v27, v41
	v_dual_fmamk_f32 v12, v67, 0x3f116cb1, v68 :: v_dual_mul_f32 v39, 0x3f116cb1, v11
	v_add_f32_e32 v40, v27, v66
	v_fma_f32 v42, 0x3f116cb1, v67, -v68
	v_mul_f32_e32 v66, 0xbf3f9e67, v11
	s_delay_alu instid0(VALU_DEP_4) | instskip(SKIP_3) | instid1(VALU_DEP_4)
	v_dual_add_f32 v12, v12, v55 :: v_dual_fmamk_f32 v27, v10, 0x3f52af12, v39
	v_mul_f32_e32 v41, 0xbf6f5d39, v65
	v_fmac_f32_e32 v39, 0xbf52af12, v10
	v_dual_mul_f32 v55, 0xbeb58ec6, v11 :: v_dual_add_f32 v36, v42, v36
	v_dual_add_f32 v27, v27, v56 :: v_dual_mul_f32 v42, 0xbe750f2a, v65
	s_delay_alu instid0(VALU_DEP_4) | instskip(NEXT) | instid1(VALU_DEP_4)
	v_fmamk_f32 v56, v67, 0xbeb58ec6, v41
	v_add_f32_e32 v37, v39, v37
	s_delay_alu instid0(VALU_DEP_4) | instskip(NEXT) | instid1(VALU_DEP_3)
	v_fmamk_f32 v39, v10, 0x3f6f5d39, v55
	v_dual_fmac_f32 v55, 0xbf6f5d39, v10 :: v_dual_add_f32 v56, v56, v57
	v_fmamk_f32 v57, v67, 0xbf788fa5, v42
	v_fma_f32 v42, 0xbf788fa5, v67, -v42
	s_delay_alu instid0(VALU_DEP_4) | instskip(NEXT) | instid1(VALU_DEP_2)
	v_dual_add_f32 v39, v39, v58 :: v_dual_mul_f32 v58, 0xbf788fa5, v11
	v_add_f32_e32 v42, v42, v50
	v_fma_f32 v41, 0xbeb58ec6, v67, -v41
	s_delay_alu instid0(VALU_DEP_1)
	v_add_f32_e32 v41, v41, v43
	v_add_f32_e32 v43, v55, v47
	v_mul_f32_e32 v47, 0x3f29c268, v65
	v_add_f32_e32 v55, v57, v59
	v_fmamk_f32 v57, v10, 0x3e750f2a, v58
	v_fmac_f32_e32 v58, 0xbe750f2a, v10
	s_delay_alu instid0(VALU_DEP_1) | instskip(SKIP_4) | instid1(VALU_DEP_2)
	v_add_f32_e32 v50, v58, v51
	v_fmamk_f32 v58, v10, 0xbf29c268, v66
	v_fmac_f32_e32 v66, 0x3f29c268, v10
	v_fmamk_f32 v59, v67, 0xbf3f9e67, v47
	v_fma_f32 v47, 0xbf3f9e67, v67, -v47
	v_add_f32_e32 v51, v59, v61
	v_mul_f32_e32 v59, 0x3f7e222b, v65
	v_mul_f32_e32 v61, 0x3eedf032, v65
	s_delay_alu instid0(VALU_DEP_2) | instskip(SKIP_1) | instid1(VALU_DEP_2)
	v_dual_add_f32 v15, v58, v15 :: v_dual_fmamk_f32 v58, v67, 0x3df6dbef, v59
	v_fma_f32 v59, 0x3df6dbef, v67, -v59
	v_add_f32_e32 v58, v58, v62
	s_delay_alu instid0(VALU_DEP_4) | instskip(NEXT) | instid1(VALU_DEP_3)
	v_fmamk_f32 v62, v67, 0x3f62ad3f, v61
	v_dual_add_f32 v54, v59, v54 :: v_dual_add_f32 v57, v57, v60
	v_mul_f32_e32 v60, 0x3df6dbef, v11
	v_mul_f32_e32 v11, 0x3f62ad3f, v11
	v_add_f32_e32 v47, v47, v52
	s_delay_alu instid0(VALU_DEP_3) | instskip(SKIP_1) | instid1(VALU_DEP_2)
	v_dual_sub_f32 v59, v19, v25 :: v_dual_fmamk_f32 v52, v10, 0xbf7e222b, v60
	v_fmac_f32_e32 v60, 0x3f7e222b, v10
	v_add_f32_e32 v52, v52, v63
	s_delay_alu instid0(VALU_DEP_2) | instskip(SKIP_4) | instid1(VALU_DEP_3)
	v_add_f32_e32 v14, v60, v14
	v_add_f32_e32 v60, v62, v64
	v_fmamk_f32 v62, v10, 0xbeedf032, v11
	v_dual_fmac_f32 v11, 0x3eedf032, v10 :: v_dual_sub_f32 v10, v18, v24
	v_add_f32_e32 v63, v24, v18
	v_dual_add_f32 v19, v25, v19 :: v_dual_add_f32 v40, v62, v40
	v_fma_f32 v25, 0x3f62ad3f, v67, -v61
	s_delay_alu instid0(VALU_DEP_2) | instskip(NEXT) | instid1(VALU_DEP_2)
	v_dual_mul_f32 v24, 0x3df6dbef, v19 :: v_dual_add_f32 v53, v66, v53
	v_dual_mul_f32 v64, 0xbf7e222b, v59 :: v_dual_add_f32 v13, v25, v13
	s_delay_alu instid0(VALU_DEP_1) | instskip(NEXT) | instid1(VALU_DEP_1)
	v_fmamk_f32 v18, v63, 0x3df6dbef, v64
	v_dual_mul_f32 v61, 0xbf788fa5, v19 :: v_dual_add_f32 v12, v18, v12
	s_delay_alu instid0(VALU_DEP_4) | instskip(SKIP_2) | instid1(VALU_DEP_3)
	v_fmamk_f32 v18, v10, 0x3f7e222b, v24
	v_fmac_f32_e32 v24, 0xbf7e222b, v10
	v_mul_f32_e32 v25, 0xbe750f2a, v59
	v_add_f32_e32 v18, v18, v27
	s_delay_alu instid0(VALU_DEP_3) | instskip(SKIP_1) | instid1(VALU_DEP_1)
	v_dual_add_f32 v24, v24, v37 :: v_dual_add_f32 v11, v11, v26
	v_fma_f32 v26, 0x3df6dbef, v63, -v64
	v_add_f32_e32 v26, v26, v36
	v_fmamk_f32 v36, v10, 0x3e750f2a, v61
	v_fmamk_f32 v27, v63, 0xbf788fa5, v25
	v_fma_f32 v25, 0xbf788fa5, v63, -v25
	s_delay_alu instid0(VALU_DEP_2) | instskip(NEXT) | instid1(VALU_DEP_2)
	v_dual_add_f32 v36, v36, v39 :: v_dual_add_f32 v27, v27, v56
	v_dual_mul_f32 v56, 0xbeb58ec6, v19 :: v_dual_add_f32 v25, v25, v41
	v_mul_f32_e32 v37, 0x3f6f5d39, v59
	s_delay_alu instid0(VALU_DEP_1) | instskip(NEXT) | instid1(VALU_DEP_1)
	v_fmamk_f32 v39, v63, 0xbeb58ec6, v37
	v_add_f32_e32 v39, v39, v55
	s_delay_alu instid0(VALU_DEP_4) | instskip(SKIP_2) | instid1(VALU_DEP_3)
	v_fmamk_f32 v55, v10, 0xbf6f5d39, v56
	v_fmac_f32_e32 v56, 0x3f6f5d39, v10
	v_fma_f32 v37, 0xbeb58ec6, v63, -v37
	v_dual_mul_f32 v62, 0x3f62ad3f, v19 :: v_dual_add_f32 v55, v55, v57
	v_mul_f32_e32 v57, 0x3f116cb1, v19
	s_delay_alu instid0(VALU_DEP_3) | instskip(SKIP_4) | instid1(VALU_DEP_2)
	v_add_f32_e32 v37, v37, v42
	v_add_f32_e32 v42, v56, v50
	v_mul_f32_e32 v56, 0xbf52af12, v59
	v_fmac_f32_e32 v61, 0xbe750f2a, v10
	v_mul_f32_e32 v19, 0xbf3f9e67, v19
	v_add_f32_e32 v41, v61, v43
	v_mul_f32_e32 v43, 0x3eedf032, v59
	s_delay_alu instid0(VALU_DEP_1) | instskip(NEXT) | instid1(VALU_DEP_1)
	v_fmamk_f32 v61, v63, 0x3f62ad3f, v43
	v_dual_add_f32 v50, v61, v51 :: v_dual_fmamk_f32 v51, v10, 0xbeedf032, v62
	s_delay_alu instid0(VALU_DEP_1) | instskip(SKIP_2) | instid1(VALU_DEP_1)
	v_dual_fmac_f32 v62, 0x3eedf032, v10 :: v_dual_add_f32 v15, v51, v15
	v_fmamk_f32 v51, v63, 0x3f116cb1, v56
	v_fma_f32 v56, 0x3f116cb1, v63, -v56
	v_add_f32_e32 v54, v56, v54
	v_fma_f32 v43, 0x3f62ad3f, v63, -v43
	v_sub_f32_e32 v56, v21, v23
	s_delay_alu instid0(VALU_DEP_2) | instskip(SKIP_2) | instid1(VALU_DEP_1)
	v_add_f32_e32 v43, v43, v47
	v_fmamk_f32 v47, v10, 0x3f52af12, v57
	v_fmac_f32_e32 v57, 0xbf52af12, v10
	v_dual_add_f32 v14, v57, v14 :: v_dual_fmamk_f32 v57, v10, 0x3f29c268, v19
	v_fmac_f32_e32 v19, 0xbf29c268, v10
	v_dual_sub_f32 v10, v20, v22 :: v_dual_add_f32 v21, v23, v21
	s_delay_alu instid0(VALU_DEP_3) | instskip(SKIP_1) | instid1(VALU_DEP_3)
	v_dual_add_f32 v40, v57, v40 :: v_dual_add_f32 v51, v51, v58
	v_add_f32_e32 v58, v22, v20
	v_dual_mul_f32 v22, 0xbeb58ec6, v21 :: v_dual_add_f32 v11, v19, v11
	v_mul_f32_e32 v57, 0xbf3f9e67, v21
	s_delay_alu instid0(VALU_DEP_2) | instskip(SKIP_1) | instid1(VALU_DEP_2)
	v_fmamk_f32 v19, v10, 0x3f6f5d39, v22
	v_fmac_f32_e32 v22, 0xbf6f5d39, v10
	v_dual_mul_f32 v59, 0xbf29c268, v59 :: v_dual_add_f32 v18, v19, v18
	s_delay_alu instid0(VALU_DEP_2) | instskip(SKIP_1) | instid1(VALU_DEP_3)
	v_add_f32_e32 v22, v22, v24
	v_add_f32_e32 v47, v47, v52
	v_dual_add_f32 v53, v62, v53 :: v_dual_fmamk_f32 v52, v63, 0xbf3f9e67, v59
	v_fma_f32 v23, 0xbf3f9e67, v63, -v59
	v_fmamk_f32 v24, v10, 0xbf29c268, v57
	s_delay_alu instid0(VALU_DEP_3) | instskip(NEXT) | instid1(VALU_DEP_3)
	v_dual_fmac_f32 v57, 0x3f29c268, v10 :: v_dual_add_f32 v52, v52, v60
	v_dual_mul_f32 v60, 0xbf6f5d39, v56 :: v_dual_add_f32 v13, v23, v13
	s_delay_alu instid0(VALU_DEP_3) | instskip(SKIP_1) | instid1(VALU_DEP_3)
	v_add_f32_e32 v24, v24, v36
	v_mul_f32_e32 v36, 0x3f62ad3f, v21
	v_fmamk_f32 v20, v58, 0xbeb58ec6, v60
	v_fma_f32 v23, 0xbeb58ec6, v58, -v60
	s_delay_alu instid0(VALU_DEP_2) | instskip(SKIP_2) | instid1(VALU_DEP_4)
	v_add_f32_e32 v12, v20, v12
	v_mul_f32_e32 v20, 0x3f29c268, v56
	v_mul_f32_e32 v59, 0x3df6dbef, v21
	v_dual_add_f32 v23, v23, v26 :: v_dual_mul_f32 v26, 0x3eedf032, v56
	s_delay_alu instid0(VALU_DEP_3) | instskip(SKIP_1) | instid1(VALU_DEP_1)
	v_fmamk_f32 v19, v58, 0xbf3f9e67, v20
	v_fma_f32 v20, 0xbf3f9e67, v58, -v20
	v_dual_add_f32 v19, v19, v27 :: v_dual_add_f32 v20, v20, v25
	v_add_f32_e32 v25, v57, v41
	v_mul_f32_e32 v41, 0xbf7e222b, v56
	v_fmamk_f32 v27, v58, 0x3f62ad3f, v26
	v_fma_f32 v26, 0x3f62ad3f, v58, -v26
	s_delay_alu instid0(VALU_DEP_3) | instskip(NEXT) | instid1(VALU_DEP_1)
	v_fmamk_f32 v57, v58, 0x3df6dbef, v41
	v_dual_add_f32 v26, v26, v37 :: v_dual_add_f32 v37, v57, v50
	s_delay_alu instid0(VALU_DEP_4) | instskip(SKIP_2) | instid1(VALU_DEP_2)
	v_dual_mul_f32 v50, 0x3e750f2a, v56 :: v_dual_add_f32 v27, v27, v39
	v_fmamk_f32 v39, v10, 0xbeedf032, v36
	v_fmac_f32_e32 v36, 0x3eedf032, v10
	v_dual_mul_f32 v56, 0x3f52af12, v56 :: v_dual_add_f32 v39, v39, v55
	s_delay_alu instid0(VALU_DEP_2) | instskip(SKIP_3) | instid1(VALU_DEP_3)
	v_add_f32_e32 v36, v36, v42
	v_fmamk_f32 v42, v10, 0x3f7e222b, v59
	v_mul_f32_e32 v55, 0xbf788fa5, v21
	v_mul_f32_e32 v21, 0x3f116cb1, v21
	v_add_f32_e32 v15, v42, v15
	v_fmamk_f32 v42, v58, 0xbf788fa5, v50
	v_fma_f32 v50, 0xbf788fa5, v58, -v50
	s_delay_alu instid0(VALU_DEP_2) | instskip(NEXT) | instid1(VALU_DEP_2)
	v_add_f32_e32 v42, v42, v51
	v_add_f32_e32 v50, v50, v54
	v_fma_f32 v41, 0x3df6dbef, v58, -v41
	v_add_f32_e32 v54, v6, v0
	v_dual_sub_f32 v0, v0, v6 :: v_dual_sub_f32 v51, v1, v7
	v_add_f32_e32 v1, v7, v1
	s_delay_alu instid0(VALU_DEP_4) | instskip(SKIP_3) | instid1(VALU_DEP_3)
	v_add_f32_e32 v41, v41, v43
	v_fmamk_f32 v43, v10, 0xbe750f2a, v55
	v_fmac_f32_e32 v55, 0x3e750f2a, v10
	v_fma_f32 v7, 0x3f116cb1, v58, -v56
	v_add_f32_e32 v43, v43, v47
	s_delay_alu instid0(VALU_DEP_3) | instskip(SKIP_1) | instid1(VALU_DEP_4)
	v_dual_fmamk_f32 v47, v58, 0x3f116cb1, v56 :: v_dual_add_f32 v14, v55, v14
	v_mul_f32_e32 v55, 0xbf29c268, v51
	v_add_f32_e32 v7, v7, v13
	s_delay_alu instid0(VALU_DEP_3) | instskip(NEXT) | instid1(VALU_DEP_3)
	v_dual_add_f32 v47, v47, v52 :: v_dual_fmamk_f32 v52, v10, 0xbf52af12, v21
	v_fmamk_f32 v6, v54, 0xbf3f9e67, v55
	s_delay_alu instid0(VALU_DEP_2) | instskip(NEXT) | instid1(VALU_DEP_2)
	v_dual_fmac_f32 v21, 0x3f52af12, v10 :: v_dual_add_f32 v40, v52, v40
	v_add_f32_e32 v6, v6, v12
	v_mul_f32_e32 v52, 0x3df6dbef, v1
	v_fmac_f32_e32 v59, 0xbf7e222b, v10
	v_mul_f32_e32 v10, 0xbf3f9e67, v1
	s_delay_alu instid0(VALU_DEP_1) | instskip(SKIP_1) | instid1(VALU_DEP_2)
	v_fmamk_f32 v12, v0, 0x3f29c268, v10
	v_fmac_f32_e32 v10, 0xbf29c268, v0
	v_dual_mul_f32 v13, 0x3f7e222b, v51 :: v_dual_add_f32 v12, v12, v18
	s_delay_alu instid0(VALU_DEP_2) | instskip(NEXT) | instid1(VALU_DEP_2)
	v_add_f32_e32 v10, v10, v22
	v_fmamk_f32 v18, v54, 0x3df6dbef, v13
	v_dual_fmamk_f32 v22, v0, 0xbf7e222b, v52 :: v_dual_add_f32 v53, v59, v53
	v_fma_f32 v13, 0x3df6dbef, v54, -v13
	v_fmac_f32_e32 v52, 0x3f7e222b, v0
	s_delay_alu instid0(VALU_DEP_4) | instskip(NEXT) | instid1(VALU_DEP_4)
	v_add_f32_e32 v18, v18, v19
	v_dual_add_f32 v19, v22, v24 :: v_dual_mul_f32 v24, 0x3f116cb1, v1
	s_delay_alu instid0(VALU_DEP_3) | instskip(SKIP_3) | instid1(VALU_DEP_3)
	v_dual_add_f32 v13, v13, v20 :: v_dual_add_f32 v20, v52, v25
	v_mul_f32_e32 v25, 0x3e750f2a, v51
	v_add_f32_e32 v11, v21, v11
	v_fma_f32 v21, 0xbf3f9e67, v54, -v55
	v_dual_mul_f32 v55, 0xbf788fa5, v1 :: v_dual_fmamk_f32 v52, v54, 0xbf788fa5, v25
	v_fma_f32 v25, 0xbf788fa5, v54, -v25
	s_delay_alu instid0(VALU_DEP_3) | instskip(SKIP_1) | instid1(VALU_DEP_1)
	v_add_f32_e32 v21, v21, v23
	v_mul_f32_e32 v23, 0xbf52af12, v51
	v_dual_add_f32 v25, v25, v41 :: v_dual_fmamk_f32 v22, v54, 0x3f116cb1, v23
	v_fma_f32 v23, 0x3f116cb1, v54, -v23
	s_delay_alu instid0(VALU_DEP_2) | instskip(NEXT) | instid1(VALU_DEP_2)
	v_dual_add_f32 v22, v22, v27 :: v_dual_fmamk_f32 v27, v0, 0x3f52af12, v24
	v_dual_fmac_f32 v24, 0xbf52af12, v0 :: v_dual_add_f32 v23, v23, v26
	v_dual_add_f32 v26, v52, v37 :: v_dual_mul_f32 v37, 0x3eedf032, v51
	s_delay_alu instid0(VALU_DEP_2)
	v_dual_add_f32 v27, v27, v39 :: v_dual_add_f32 v24, v24, v36
	v_fmamk_f32 v36, v0, 0xbe750f2a, v55
	v_mul_f32_e32 v39, 0x3f62ad3f, v1
	v_fmac_f32_e32 v55, 0x3e750f2a, v0
	v_mul_f32_e32 v51, 0xbf6f5d39, v51
	v_mul_f32_e32 v1, 0xbeb58ec6, v1
	v_dual_add_f32 v15, v36, v15 :: v_dual_fmamk_f32 v36, v54, 0x3f62ad3f, v37
	s_delay_alu instid0(VALU_DEP_4) | instskip(SKIP_2) | instid1(VALU_DEP_4)
	v_dual_fmamk_f32 v41, v0, 0xbeedf032, v39 :: v_dual_add_f32 v52, v55, v53
	v_add_f32_e32 v55, v5, v3
	v_add_f32_e32 v53, v4, v2
	;; [unrolled: 1-line block ×3, first 2 shown]
	v_fma_f32 v36, 0x3f62ad3f, v54, -v37
	v_add_f32_e32 v41, v41, v43
	v_fmamk_f32 v37, v54, 0xbeb58ec6, v51
	s_delay_alu instid0(VALU_DEP_3) | instskip(SKIP_2) | instid1(VALU_DEP_3)
	v_dual_add_f32 v43, v36, v50 :: v_dual_sub_f32 v50, v3, v5
	v_fma_f32 v3, 0xbeb58ec6, v54, -v51
	v_dual_sub_f32 v51, v2, v4 :: v_dual_mul_f32 v2, 0xbf788fa5, v55
	v_mul_f32_e32 v36, 0xbe750f2a, v50
	s_delay_alu instid0(VALU_DEP_3) | instskip(SKIP_3) | instid1(VALU_DEP_4)
	v_dual_add_f32 v54, v3, v7 :: v_dual_fmac_f32 v39, 0x3eedf032, v0
	v_mul_f32_e32 v3, 0x3eedf032, v50
	v_mul_f32_e32 v7, 0xbf29c268, v50
	;; [unrolled: 1-line block ×3, first 2 shown]
	v_dual_add_f32 v39, v39, v14 :: v_dual_fmamk_f32 v14, v0, 0x3f6f5d39, v1
	v_fmac_f32_e32 v1, 0xbf6f5d39, v0
	v_fmamk_f32 v0, v53, 0xbf788fa5, v36
	s_delay_alu instid0(VALU_DEP_3) | instskip(NEXT) | instid1(VALU_DEP_3)
	v_add_f32_e32 v40, v14, v40
	v_add_f32_e32 v56, v1, v11
	s_delay_alu instid0(VALU_DEP_3) | instskip(SKIP_4) | instid1(VALU_DEP_4)
	v_dual_add_f32 v0, v0, v6 :: v_dual_fmamk_f32 v1, v51, 0x3e750f2a, v2
	v_fmac_f32_e32 v2, 0xbe750f2a, v51
	v_fmamk_f32 v6, v53, 0x3f62ad3f, v3
	v_mul_f32_e32 v11, 0xbf3f9e67, v55
	v_add_f32_e32 v47, v37, v47
	v_add_f32_e32 v37, v2, v10
	s_delay_alu instid0(VALU_DEP_4)
	v_add_f32_e32 v2, v6, v18
	v_mul_f32_e32 v18, 0x3f116cb1, v55
	v_fma_f32 v4, 0xbf788fa5, v53, -v36
	v_fma_f32 v6, 0x3f62ad3f, v53, -v3
	v_fmamk_f32 v10, v53, 0xbf3f9e67, v7
	v_add_f32_e32 v1, v1, v12
	v_fma_f32 v12, 0xbf3f9e67, v53, -v7
	v_add_f32_e32 v36, v4, v21
	v_fmamk_f32 v4, v51, 0xbeedf032, v5
	s_delay_alu instid0(VALU_DEP_1) | instskip(SKIP_3) | instid1(VALU_DEP_3)
	v_dual_add_f32 v3, v4, v19 :: v_dual_add_f32 v4, v6, v13
	v_mul_f32_e32 v13, 0x3f52af12, v50
	v_add_f32_e32 v6, v10, v22
	v_mul_f32_e32 v19, 0xbf6f5d39, v50
	v_fmamk_f32 v14, v53, 0x3f116cb1, v13
	v_fmac_f32_e32 v5, 0x3eedf032, v51
	v_fmamk_f32 v10, v51, 0x3f29c268, v11
	s_delay_alu instid0(VALU_DEP_4) | instskip(SKIP_1) | instid1(VALU_DEP_3)
	v_fmamk_f32 v22, v53, 0xbeb58ec6, v19
	v_fmac_f32_e32 v11, 0xbf29c268, v51
	v_add_f32_e32 v7, v10, v27
	v_add_f32_e32 v10, v12, v23
	;; [unrolled: 1-line block ×3, first 2 shown]
	v_fmamk_f32 v14, v51, 0xbf52af12, v18
	v_fmac_f32_e32 v18, 0x3f52af12, v51
	v_mul_f32_e32 v21, 0xbeb58ec6, v55
	v_add_f32_e32 v5, v5, v20
	v_fma_f32 v20, 0x3f116cb1, v53, -v13
	v_add_f32_e32 v13, v14, v15
	v_add_f32_e32 v15, v18, v52
	v_fma_f32 v23, 0xbeb58ec6, v53, -v19
	v_add_f32_e32 v18, v22, v42
	v_add_f32_e32 v14, v20, v25
	v_fmamk_f32 v20, v51, 0x3f6f5d39, v21
	v_mul_f32_e32 v22, 0x3f7e222b, v50
	v_mul_f32_e32 v25, 0x3df6dbef, v55
	v_add_f32_e32 v11, v11, v24
	v_fmac_f32_e32 v21, 0xbf6f5d39, v51
	v_dual_add_f32 v19, v20, v41 :: v_dual_add_f32 v20, v23, v43
	v_fmamk_f32 v23, v53, 0x3df6dbef, v22
	v_fmamk_f32 v24, v51, 0xbf7e222b, v25
	v_fma_f32 v26, 0x3df6dbef, v53, -v22
	v_fmac_f32_e32 v25, 0x3f7e222b, v51
	v_add_f32_e32 v21, v21, v39
	s_delay_alu instid0(VALU_DEP_4) | instskip(NEXT) | instid1(VALU_DEP_4)
	v_dual_add_f32 v22, v23, v47 :: v_dual_add_f32 v23, v24, v40
	v_add_f32_e32 v24, v26, v54
	v_mad_u32_u24 v26, 0x60, v30, v46
	v_add_f32_e32 v25, v25, v56
	ds_store_2addr_b64 v26, v[8:9], v[0:1] offset1:1
	ds_store_2addr_b64 v26, v[2:3], v[6:7] offset0:2 offset1:3
	ds_store_2addr_b64 v26, v[12:13], v[18:19] offset0:4 offset1:5
	;; [unrolled: 1-line block ×5, first 2 shown]
	ds_store_b64 v26, v[36:37] offset:96
	v_add_nc_u32_e32 v0, 0xc00, v46
	v_lshl_add_u32 v47, v35, 3, v44
	global_wb scope:SCOPE_SE
	s_wait_dscnt 0x0
	s_barrier_signal -1
	s_barrier_wait -1
	global_inv scope:SCOPE_SE
	ds_load_2addr_b64 v[12:15], v46 offset0:169 offset1:247
	ds_load_2addr_b64 v[8:11], v49 offset0:82 offset1:160
	;; [unrolled: 1-line block ×5, first 2 shown]
	ds_load_b64 v[42:43], v45
	ds_load_b64 v[40:41], v47
	v_lshlrev_b32_e32 v50, 3, v34
                                        ; implicit-def: $vgpr39
                                        ; implicit-def: $vgpr7
                                        ; implicit-def: $vgpr3
	s_and_saveexec_b32 s1, s0
	s_cbranch_execz .LBB0_15
; %bb.14:
	s_delay_alu instid0(VALU_DEP_1)
	v_add3_u32 v36, 0, v50, v48
	ds_load_2addr_b64 v[0:3], v49 offset0:69 offset1:238
	ds_load_2addr_b64 v[4:7], v38 offset0:23 offset1:192
	ds_load_b64 v[36:37], v36
	ds_load_b64 v[38:39], v46 offset:8008
.LBB0_15:
	s_wait_alu 0xfffe
	s_or_b32 exec_lo, exec_lo, s1
	v_and_b32_e32 v49, 0xff, v30
	v_and_b32_e32 v51, 0xff, v35
	s_delay_alu instid0(VALU_DEP_2) | instskip(NEXT) | instid1(VALU_DEP_2)
	v_mul_lo_u16 v49, 0x4f, v49
	v_mul_lo_u16 v51, 0x4f, v51
	s_delay_alu instid0(VALU_DEP_2) | instskip(NEXT) | instid1(VALU_DEP_2)
	v_lshrrev_b16 v49, 10, v49
	v_lshrrev_b16 v71, 10, v51
	s_delay_alu instid0(VALU_DEP_2) | instskip(NEXT) | instid1(VALU_DEP_1)
	v_mul_lo_u16 v52, v49, 13
	v_sub_nc_u16 v51, v30, v52
	s_delay_alu instid0(VALU_DEP_3) | instskip(NEXT) | instid1(VALU_DEP_2)
	v_mul_lo_u16 v52, v71, 13
	v_and_b32_e32 v72, 0xff, v51
	s_delay_alu instid0(VALU_DEP_2) | instskip(NEXT) | instid1(VALU_DEP_2)
	v_sub_nc_u16 v51, v35, v52
	v_mul_u32_u24_e32 v52, 5, v72
	s_delay_alu instid0(VALU_DEP_2) | instskip(NEXT) | instid1(VALU_DEP_2)
	v_and_b32_e32 v73, 0xff, v51
	v_lshlrev_b32_e32 v59, 3, v52
	s_delay_alu instid0(VALU_DEP_2)
	v_mul_u32_u24_e32 v60, 5, v73
	s_clause 0x1
	global_load_b128 v[51:54], v59, s[8:9]
	global_load_b128 v[55:58], v59, s[8:9] offset:16
	v_lshlrev_b32_e32 v69, 3, v60
	v_and_b32_e32 v71, 0xffff, v71
	v_and_b32_e32 v49, 0xffff, v49
	s_wait_loadcnt_dscnt 0x4
	v_mul_f32_e32 v74, v56, v25
	v_mul_f32_e32 v56, v56, v24
	s_clause 0x3
	global_load_b64 v[67:68], v59, s[8:9] offset:32
	global_load_b128 v[59:62], v69, s[8:9]
	global_load_b128 v[63:66], v69, s[8:9] offset:16
	global_load_b64 v[69:70], v69, s[8:9] offset:32
	v_lshlrev_b32_e32 v73, 3, v73
	s_wait_dscnt 0x3
	v_mul_f32_e32 v75, v58, v21
	v_mul_f32_e32 v58, v58, v20
	v_mad_u32_u24 v71, 0x270, v71, 0
	v_mad_u32_u24 v49, 0x270, v49, 0
	global_wb scope:SCOPE_SE
	s_wait_loadcnt_dscnt 0x0
	s_barrier_signal -1
	s_barrier_wait -1
	global_inv scope:SCOPE_SE
	v_mul_f32_e32 v76, v68, v17
	v_mul_f32_e32 v68, v68, v16
	v_add3_u32 v71, v71, v73, v48
	v_dual_mul_f32 v73, v54, v9 :: v_dual_lshlrev_b32 v72, 3, v72
	v_dual_mul_f32 v77, v60, v15 :: v_dual_mul_f32 v54, v54, v8
	v_mul_f32_e32 v60, v60, v14
	v_dual_mul_f32 v78, v62, v11 :: v_dual_mul_f32 v81, v19, v70
	s_delay_alu instid0(VALU_DEP_4)
	v_add3_u32 v49, v49, v72, v48
	v_mul_f32_e32 v72, v52, v13
	v_mul_f32_e32 v52, v52, v12
	v_dual_mul_f32 v62, v62, v10 :: v_dual_mul_f32 v79, v64, v27
	v_dual_mul_f32 v64, v64, v26 :: v_dual_fmac_f32 v73, v53, v8
	v_dual_mul_f32 v80, v23, v66 :: v_dual_fmac_f32 v75, v57, v20
	v_mul_f32_e32 v70, v18, v70
	v_dual_fmac_f32 v72, v51, v12 :: v_dual_fmac_f32 v81, v18, v69
	v_fma_f32 v51, v51, v13, -v52
	v_fma_f32 v8, v53, v9, -v54
	v_fmac_f32_e32 v74, v55, v24
	v_fma_f32 v9, v55, v25, -v56
	v_fma_f32 v13, v67, v17, -v68
	v_add_f32_e32 v17, v42, v73
	v_fma_f32 v12, v57, v21, -v58
	v_mul_f32_e32 v66, v22, v66
	v_fmac_f32_e32 v76, v67, v16
	v_dual_fmac_f32 v77, v59, v14 :: v_dual_fmac_f32 v80, v22, v65
	v_fma_f32 v16, v59, v15, -v60
	v_sub_f32_e32 v21, v73, v75
	v_fma_f32 v15, v19, v69, -v70
	v_dual_add_f32 v22, v72, v74 :: v_dual_add_f32 v25, v51, v9
	v_sub_f32_e32 v24, v9, v13
	v_add_f32_e32 v9, v9, v13
	v_fmac_f32_e32 v78, v61, v10
	v_fma_f32 v10, v61, v11, -v62
	v_fma_f32 v11, v63, v27, -v64
	v_dual_fmac_f32 v79, v63, v26 :: v_dual_add_f32 v18, v73, v75
	v_sub_f32_e32 v19, v8, v12
	v_fma_f32 v14, v23, v65, -v66
	v_add_f32_e32 v23, v74, v76
	v_dual_add_f32 v20, v43, v8 :: v_dual_add_f32 v27, v40, v78
	s_delay_alu instid0(VALU_DEP_3)
	v_dual_add_f32 v8, v8, v12 :: v_dual_sub_f32 v53, v10, v14
	v_dual_add_f32 v52, v78, v80 :: v_dual_add_f32 v59, v16, v11
	v_add_f32_e32 v54, v41, v10
	v_dual_sub_f32 v58, v11, v15 :: v_dual_add_f32 v13, v25, v13
	v_dual_add_f32 v11, v11, v15 :: v_dual_sub_f32 v26, v74, v76
	v_dual_add_f32 v57, v79, v81 :: v_dual_add_f32 v10, v10, v14
	v_add_f32_e32 v17, v17, v75
	v_dual_add_f32 v56, v77, v79 :: v_dual_fmac_f32 v43, -0.5, v8
	v_dual_add_f32 v12, v20, v12 :: v_dual_fmac_f32 v51, -0.5, v9
	s_delay_alu instid0(VALU_DEP_4)
	v_dual_sub_f32 v60, v79, v81 :: v_dual_fmac_f32 v41, -0.5, v10
	v_fma_f32 v42, -0.5, v18, v42
	v_dual_add_f32 v18, v22, v76 :: v_dual_fmac_f32 v77, -0.5, v57
	v_dual_fmac_f32 v72, -0.5, v23 :: v_dual_fmamk_f32 v25, v21, 0x3f5db3d7, v43
	v_dual_fmac_f32 v16, -0.5, v11 :: v_dual_sub_f32 v55, v78, v80
	v_dual_add_f32 v20, v27, v80 :: v_dual_fmac_f32 v43, 0xbf5db3d7, v21
	v_fma_f32 v40, -0.5, v52, v40
	v_dual_add_f32 v22, v54, v14 :: v_dual_add_f32 v15, v59, v15
	v_dual_add_f32 v14, v56, v81 :: v_dual_fmamk_f32 v23, v19, 0xbf5db3d7, v42
	v_fmamk_f32 v21, v26, 0x3f5db3d7, v51
	s_delay_alu instid0(VALU_DEP_4)
	v_dual_fmac_f32 v51, 0xbf5db3d7, v26 :: v_dual_fmamk_f32 v52, v53, 0xbf5db3d7, v40
	v_dual_fmac_f32 v42, 0x3f5db3d7, v19 :: v_dual_add_f32 v9, v12, v13
	v_dual_fmamk_f32 v19, v24, 0xbf5db3d7, v72 :: v_dual_add_f32 v8, v17, v18
	v_sub_f32_e32 v10, v17, v18
	v_fmamk_f32 v18, v60, 0x3f5db3d7, v16
	v_dual_fmac_f32 v72, 0x3f5db3d7, v24 :: v_dual_sub_f32 v11, v12, v13
	v_dual_fmac_f32 v40, 0x3f5db3d7, v53 :: v_dual_fmamk_f32 v53, v55, 0x3f5db3d7, v41
	v_dual_fmac_f32 v41, 0xbf5db3d7, v55 :: v_dual_fmac_f32 v16, 0xbf5db3d7, v60
	v_dual_fmamk_f32 v17, v58, 0xbf5db3d7, v77 :: v_dual_add_f32 v12, v20, v14
	v_dual_add_f32 v13, v22, v15 :: v_dual_sub_f32 v14, v20, v14
	v_dual_sub_f32 v15, v22, v15 :: v_dual_mul_f32 v20, 0xbf5db3d7, v21
	v_dual_mul_f32 v22, 0xbf5db3d7, v51 :: v_dual_mul_f32 v21, 0.5, v21
	v_dual_mul_f32 v24, -0.5, v51 :: v_dual_mul_f32 v55, 0.5, v18
	v_mul_f32_e32 v51, 0xbf5db3d7, v18
	v_fmac_f32_e32 v77, 0x3f5db3d7, v58
	v_mul_f32_e32 v54, 0xbf5db3d7, v16
	v_dual_mul_f32 v56, -0.5, v16 :: v_dual_fmac_f32 v21, 0x3f5db3d7, v19
	v_dual_fmac_f32 v20, 0.5, v19 :: v_dual_fmac_f32 v55, 0x3f5db3d7, v17
	v_fmac_f32_e32 v22, -0.5, v72
	v_dual_fmac_f32 v24, 0x3f5db3d7, v72 :: v_dual_fmac_f32 v51, 0.5, v17
	s_delay_alu instid0(VALU_DEP_4) | instskip(SKIP_1) | instid1(VALU_DEP_3)
	v_add_f32_e32 v17, v25, v21
	v_sub_f32_e32 v21, v25, v21
	v_dual_fmac_f32 v54, -0.5, v77 :: v_dual_add_f32 v19, v43, v24
	v_fmac_f32_e32 v56, 0x3f5db3d7, v77
	v_dual_add_f32 v16, v23, v20 :: v_dual_add_f32 v25, v53, v55
	v_sub_f32_e32 v20, v23, v20
	v_sub_f32_e32 v23, v43, v24
	v_dual_sub_f32 v43, v53, v55 :: v_dual_add_f32 v18, v42, v22
	v_dual_add_f32 v27, v41, v56 :: v_dual_sub_f32 v22, v42, v22
	v_dual_sub_f32 v41, v41, v56 :: v_dual_add_f32 v24, v52, v51
	v_add_f32_e32 v26, v40, v54
	v_sub_f32_e32 v42, v52, v51
	v_sub_f32_e32 v40, v40, v54
	ds_store_2addr_b64 v49, v[8:9], v[16:17] offset1:13
	ds_store_2addr_b64 v49, v[18:19], v[10:11] offset0:26 offset1:39
	ds_store_2addr_b64 v49, v[20:21], v[22:23] offset0:52 offset1:65
	ds_store_2addr_b64 v71, v[12:13], v[24:25] offset1:13
	ds_store_2addr_b64 v71, v[26:27], v[14:15] offset0:26 offset1:39
	ds_store_2addr_b64 v71, v[42:43], v[40:41] offset0:52 offset1:65
	s_and_saveexec_b32 s1, s0
	s_cbranch_execz .LBB0_17
; %bb.16:
	v_and_b32_e32 v8, 0xff, v34
	s_delay_alu instid0(VALU_DEP_1) | instskip(NEXT) | instid1(VALU_DEP_1)
	v_mul_lo_u16 v8, 0x4f, v8
	v_lshrrev_b16 v8, 10, v8
	s_delay_alu instid0(VALU_DEP_1) | instskip(NEXT) | instid1(VALU_DEP_1)
	v_mul_lo_u16 v8, v8, 13
	v_sub_nc_u16 v8, v34, v8
	s_delay_alu instid0(VALU_DEP_1) | instskip(NEXT) | instid1(VALU_DEP_1)
	v_and_b32_e32 v18, 0xff, v8
	v_mul_u32_u24_e32 v8, 5, v18
	s_delay_alu instid0(VALU_DEP_1)
	v_lshlrev_b32_e32 v16, 3, v8
	s_clause 0x2
	global_load_b128 v[8:11], v16, s[8:9]
	global_load_b128 v[12:15], v16, s[8:9] offset:16
	global_load_b64 v[16:17], v16, s[8:9] offset:32
	s_wait_loadcnt 0x2
	v_mul_f32_e32 v19, v2, v11
	v_dual_mul_f32 v11, v3, v11 :: v_dual_lshlrev_b32 v18, 3, v18
	s_wait_loadcnt 0x1
	v_dual_mul_f32 v21, v1, v9 :: v_dual_mul_f32 v20, v6, v15
	s_delay_alu instid0(VALU_DEP_2) | instskip(NEXT) | instid1(VALU_DEP_3)
	v_dual_mul_f32 v22, v5, v13 :: v_dual_fmac_f32 v11, v2, v10
	v_add3_u32 v18, 0, v18, v48
	v_mul_f32_e32 v13, v4, v13
	v_mul_f32_e32 v15, v7, v15
	s_wait_loadcnt 0x0
	v_mul_f32_e32 v23, v39, v17
	v_dual_mul_f32 v17, v38, v17 :: v_dual_fmac_f32 v22, v4, v12
	v_add_nc_u32_e32 v18, 0x1800, v18
	v_fma_f32 v3, v3, v10, -v19
	v_fma_f32 v7, v7, v14, -v20
	v_mul_f32_e32 v9, v0, v9
	v_fma_f32 v2, v39, v16, -v17
	v_fmac_f32_e32 v23, v38, v16
	v_fmac_f32_e32 v21, v0, v8
	v_fma_f32 v0, v5, v12, -v13
	v_dual_fmac_f32 v15, v6, v14 :: v_dual_add_f32 v12, v37, v3
	v_add_f32_e32 v4, v3, v7
	v_fma_f32 v1, v1, v8, -v9
	s_delay_alu instid0(VALU_DEP_4) | instskip(SKIP_2) | instid1(VALU_DEP_4)
	v_sub_f32_e32 v8, v0, v2
	v_dual_add_f32 v6, v22, v23 :: v_dual_add_f32 v9, v0, v2
	v_sub_f32_e32 v10, v22, v23
	v_dual_sub_f32 v5, v11, v15 :: v_dual_add_f32 v0, v1, v0
	v_dual_add_f32 v13, v11, v15 :: v_dual_add_f32 v14, v21, v22
	v_fma_f32 v16, -0.5, v4, v37
	v_add_f32_e32 v11, v36, v11
	v_fma_f32 v4, -0.5, v6, v21
	v_fma_f32 v6, -0.5, v9, v1
	v_dual_sub_f32 v3, v3, v7 :: v_dual_add_f32 v2, v0, v2
	v_add_f32_e32 v7, v12, v7
	v_fma_f32 v12, -0.5, v13, v36
	v_fmamk_f32 v13, v5, 0xbf5db3d7, v16
	v_dual_fmac_f32 v16, 0x3f5db3d7, v5 :: v_dual_add_f32 v9, v11, v15
	v_dual_add_f32 v11, v14, v23 :: v_dual_fmamk_f32 v14, v8, 0x3f5db3d7, v4
	v_fmamk_f32 v15, v10, 0xbf5db3d7, v6
	v_fmac_f32_e32 v6, 0x3f5db3d7, v10
	v_fmac_f32_e32 v4, 0xbf5db3d7, v8
	s_delay_alu instid0(VALU_DEP_4) | instskip(SKIP_1) | instid1(VALU_DEP_4)
	v_sub_f32_e32 v0, v9, v11
	v_fmamk_f32 v8, v3, 0x3f5db3d7, v12
	v_dual_mul_f32 v10, -0.5, v15 :: v_dual_mul_f32 v17, 0.5, v6
	v_dual_mul_f32 v15, 0xbf5db3d7, v15 :: v_dual_mul_f32 v6, 0xbf5db3d7, v6
	v_dual_sub_f32 v1, v7, v2 :: v_dual_fmac_f32 v12, 0xbf5db3d7, v3
	s_delay_alu instid0(VALU_DEP_3) | instskip(NEXT) | instid1(VALU_DEP_3)
	v_dual_fmac_f32 v10, 0x3f5db3d7, v14 :: v_dual_fmac_f32 v17, 0x3f5db3d7, v4
	v_dual_fmac_f32 v15, -0.5, v14 :: v_dual_fmac_f32 v6, 0.5, v4
	v_dual_add_f32 v3, v7, v2 :: v_dual_add_f32 v2, v9, v11
	s_delay_alu instid0(VALU_DEP_2)
	v_dual_sub_f32 v5, v13, v10 :: v_dual_sub_f32 v4, v8, v15
	v_dual_add_f32 v9, v13, v10 :: v_dual_add_f32 v8, v8, v15
	v_add_f32_e32 v11, v16, v17
	v_add_f32_e32 v10, v12, v6
	v_sub_f32_e32 v7, v16, v17
	v_sub_f32_e32 v6, v12, v6
	ds_store_2addr_b64 v18, v[2:3], v[10:11] offset0:168 offset1:181
	ds_store_2addr_b64 v18, v[8:9], v[0:1] offset0:194 offset1:207
	;; [unrolled: 1-line block ×3, first 2 shown]
.LBB0_17:
	s_wait_alu 0xfffe
	s_or_b32 exec_lo, exec_lo, s1
	v_mul_u32_u24_e32 v0, 12, v30
	global_wb scope:SCOPE_SE
	s_wait_dscnt 0x0
	s_barrier_signal -1
	s_barrier_wait -1
	global_inv scope:SCOPE_SE
	v_lshlrev_b32_e32 v0, 3, v0
	s_mov_b32 s1, exec_lo
	s_clause 0x5
	global_load_b128 v[14:17], v0, s[8:9] offset:520
	global_load_b128 v[24:27], v0, s[8:9] offset:536
	;; [unrolled: 1-line block ×6, first 2 shown]
	v_add3_u32 v0, 0, v50, v48
	ds_load_b64 v[7:8], v47
	ds_load_b64 v[48:49], v0
	v_add_nc_u32_e32 v1, 0x400, v46
	v_add_nc_u32_e32 v4, 0x800, v46
	;; [unrolled: 1-line block ×3, first 2 shown]
	s_wait_loadcnt_dscnt 0x501
	v_mul_f32_e32 v36, v15, v8
	ds_load_2addr_b64 v[63:66], v1 offset0:106 offset1:184
	v_add_nc_u32_e32 v3, 0x1000, v46
	s_wait_dscnt 0x1
	v_dual_mul_f32 v37, v17, v49 :: v_dual_add_nc_u32 v2, 0x1800, v46
	ds_load_2addr_b64 v[67:70], v4 offset0:134 offset1:212
	v_mul_f32_e32 v17, v17, v48
	v_mul_f32_e32 v15, v15, v7
	v_fmac_f32_e32 v37, v16, v48
	s_delay_alu instid0(VALU_DEP_3)
	v_fma_f32 v38, v16, v49, -v17
	s_wait_loadcnt_dscnt 0x401
	v_mul_f32_e32 v23, v25, v64
	v_mul_f32_e32 v18, v25, v63
	ds_load_2addr_b64 v[71:74], v3 offset0:34 offset1:112
	ds_load_2addr_b64 v[75:78], v0 offset0:62 offset1:140
	ds_load_b64 v[0:1], v45
	ds_load_2addr_b64 v[79:82], v2 offset0:90 offset1:168
	v_mul_f32_e32 v21, v27, v66
	s_wait_loadcnt_dscnt 0x304
	v_dual_mul_f32 v20, v27, v65 :: v_dual_mul_f32 v19, v68, v40
	v_mul_f32_e32 v25, v67, v40
	v_mul_f32_e32 v5, v70, v42
	;; [unrolled: 1-line block ×3, first 2 shown]
	s_delay_alu instid0(VALU_DEP_4)
	v_fma_f32 v22, v26, v66, -v20
	global_wb scope:SCOPE_SE
	s_wait_loadcnt_dscnt 0x0
	s_barrier_signal -1
	s_barrier_wait -1
	global_inv scope:SCOPE_SE
	v_dual_mul_f32 v9, v76, v56 :: v_dual_mul_f32 v10, v78, v58
	v_dual_mul_f32 v6, v72, v52 :: v_dual_mul_f32 v13, v74, v54
	v_mul_f32_e32 v42, v73, v54
	v_mul_f32_e32 v54, v81, v62
	;; [unrolled: 1-line block ×3, first 2 shown]
	v_dual_mul_f32 v43, v75, v56 :: v_dual_mul_f32 v50, v77, v58
	v_dual_mul_f32 v11, v80, v60 :: v_dual_mul_f32 v12, v82, v62
	v_mul_f32_e32 v52, v79, v60
	v_dual_fmac_f32 v36, v14, v7 :: v_dual_fmac_f32 v5, v69, v41
	v_fma_f32 v56, v14, v8, -v15
	v_fma_f32 v14, v82, v61, -v54
	v_dual_fmac_f32 v23, v24, v63 :: v_dual_fmac_f32 v10, v77, v57
	v_fma_f32 v24, v24, v64, -v18
	v_fmac_f32_e32 v21, v26, v65
	v_dual_fmac_f32 v19, v67, v39 :: v_dual_fmac_f32 v12, v81, v61
	v_fma_f32 v7, v70, v41, -v27
	v_fmac_f32_e32 v6, v71, v51
	v_fma_f32 v8, v72, v51, -v40
	v_fmac_f32_e32 v13, v73, v53
	v_fma_f32 v18, v74, v53, -v42
	v_add_f32_e32 v42, v56, v14
	v_fma_f32 v17, v76, v55, -v43
	v_fma_f32 v16, v78, v57, -v50
	v_fmac_f32_e32 v11, v79, v59
	v_fma_f32 v15, v80, v59, -v52
	v_add_f32_e32 v40, v36, v0
	v_add_f32_e32 v41, v56, v1
	v_fma_f32 v20, v68, v39, -v25
	v_dual_fmac_f32 v9, v75, v55 :: v_dual_sub_f32 v26, v36, v12
	v_dual_sub_f32 v43, v56, v14 :: v_dual_add_f32 v48, v38, v15
	s_delay_alu instid0(VALU_DEP_2)
	v_dual_sub_f32 v49, v38, v15 :: v_dual_sub_f32 v56, v21, v9
	v_sub_f32_e32 v50, v24, v16
	v_dual_add_f32 v25, v36, v12 :: v_dual_sub_f32 v36, v37, v11
	v_dual_add_f32 v27, v37, v11 :: v_dual_sub_f32 v52, v23, v10
	;; [unrolled: 1-line block ×3, first 2 shown]
	v_dual_add_f32 v55, v22, v17 :: v_dual_add_f32 v38, v41, v38
	v_dual_add_f32 v57, v19, v13 :: v_dual_mul_f32 v62, 0x3f116cb1, v42
	v_dual_add_f32 v37, v40, v37 :: v_dual_mul_f32 v64, 0x3df6dbef, v42
	v_mul_f32_e32 v41, 0x3f62ad3f, v42
	v_mul_f32_e32 v66, 0xbeb58ec6, v42
	;; [unrolled: 1-line block ×3, first 2 shown]
	v_dual_mul_f32 v42, 0xbf788fa5, v42 :: v_dual_mul_f32 v85, 0xbf788fa5, v51
	v_dual_sub_f32 v53, v22, v17 :: v_dual_sub_f32 v58, v20, v18
	v_dual_add_f32 v54, v21, v9 :: v_dual_mul_f32 v63, 0xbf7e222b, v43
	v_dual_mul_f32 v78, 0x3df6dbef, v48 :: v_dual_mul_f32 v97, 0x3df6dbef, v55
	s_delay_alu instid0(VALU_DEP_4)
	v_fmamk_f32 v119, v26, 0x3e750f2a, v42
	v_dual_add_f32 v39, v23, v10 :: v_dual_mul_f32 v40, 0xbeedf032, v43
	v_dual_add_f32 v59, v20, v18 :: v_dual_mul_f32 v70, 0x3f116cb1, v48
	v_mul_f32_e32 v61, 0xbf52af12, v43
	v_mul_f32_e32 v67, 0xbf29c268, v43
	;; [unrolled: 1-line block ×3, first 2 shown]
	v_dual_mul_f32 v76, 0xbf3f9e67, v48 :: v_dual_mul_f32 v95, 0xbf3f9e67, v55
	v_mul_f32_e32 v80, 0xbe750f2a, v50
	v_mul_f32_e32 v74, 0xbf788fa5, v48
	;; [unrolled: 1-line block ×4, first 2 shown]
	v_dual_mul_f32 v101, 0x3f7e222b, v58 :: v_dual_fmamk_f32 v144, v56, 0x3f7e222b, v97
	v_dual_fmamk_f32 v112, v25, 0x3df6dbef, v63 :: v_dual_add_f32 v119, v119, v1
	v_fmamk_f32 v109, v26, 0x3eedf032, v41
	v_fmamk_f32 v113, v26, 0x3f7e222b, v64
	v_dual_fmac_f32 v64, 0xbf7e222b, v26 :: v_dual_fmac_f32 v97, 0xbf7e222b, v56
	v_fmamk_f32 v111, v26, 0x3f52af12, v62
	v_fmac_f32_e32 v62, 0xbf52af12, v26
	v_fmac_f32_e32 v41, 0xbeedf032, v26
	v_add_f32_e32 v23, v37, v23
	v_mul_f32_e32 v65, 0xbf6f5d39, v43
	v_mul_f32_e32 v43, 0xbe750f2a, v43
	v_dual_mul_f32 v87, 0x3f62ad3f, v51 :: v_dual_fmamk_f32 v108, v25, 0x3f62ad3f, v40
	v_mul_f32_e32 v90, 0x3f29c268, v53
	v_mul_f32_e32 v91, 0x3eedf032, v53
	;; [unrolled: 1-line block ×3, first 2 shown]
	v_add_f32_e32 v62, v62, v1
	v_dual_mul_f32 v86, 0xbeb58ec6, v51 :: v_dual_add_f32 v41, v41, v1
	v_mul_f32_e32 v89, 0xbf6f5d39, v53
	v_dual_mul_f32 v53, 0x3f52af12, v53 :: v_dual_add_f32 v108, v108, v0
	v_mul_f32_e32 v69, 0xbf52af12, v49
	v_dual_mul_f32 v73, 0xbe750f2a, v49 :: v_dual_fmac_f32 v42, 0xbe750f2a, v26
	v_mul_f32_e32 v75, 0x3f29c268, v49
	v_mul_f32_e32 v77, 0x3f7e222b, v49
	v_dual_mul_f32 v79, 0xbf7e222b, v50 :: v_dual_add_f32 v24, v38, v24
	v_mul_f32_e32 v81, 0x3f6f5d39, v50
	v_mul_f32_e32 v82, 0x3eedf032, v50
	v_dual_mul_f32 v84, 0x3df6dbef, v51 :: v_dual_fmamk_f32 v139, v54, 0x3df6dbef, v92
	v_dual_mul_f32 v88, 0x3f116cb1, v51 :: v_dual_fmamk_f32 v141, v54, 0x3f116cb1, v53
	v_mul_f32_e32 v83, 0xbf52af12, v50
	v_mul_f32_e32 v50, 0xbf29c268, v50
	;; [unrolled: 1-line block ×3, first 2 shown]
	v_fmamk_f32 v117, v26, 0x3f29c268, v68
	v_dual_fmamk_f32 v116, v25, 0xbf3f9e67, v67 :: v_dual_fmamk_f32 v137, v54, 0xbf3f9e67, v90
	v_fma_f32 v67, 0xbf3f9e67, v25, -v67
	v_dual_add_f32 v112, v112, v0 :: v_dual_add_f32 v109, v109, v1
	v_mul_f32_e32 v71, 0xbf6f5d39, v49
	v_mul_f32_e32 v49, 0x3eedf032, v49
	s_delay_alu instid0(VALU_DEP_4)
	v_dual_fmamk_f32 v110, v25, 0x3f116cb1, v61 :: v_dual_add_f32 v67, v67, v0
	v_fmac_f32_e32 v68, 0xbf29c268, v26
	v_fmamk_f32 v136, v52, 0x3f29c268, v51
	v_fmac_f32_e32 v51, 0xbf29c268, v52
	v_fmamk_f32 v115, v26, 0x3f6f5d39, v66
	v_fmac_f32_e32 v66, 0xbf6f5d39, v26
	v_add_f32_e32 v68, v68, v1
	v_mul_f32_e32 v106, 0xbf788fa5, v59
	v_fma_f32 v40, 0x3f62ad3f, v25, -v40
	v_add_f32_e32 v115, v115, v1
	v_fma_f32 v61, 0x3f116cb1, v25, -v61
	v_fma_f32 v63, 0x3df6dbef, v25, -v63
	v_fmamk_f32 v114, v25, 0xbeb58ec6, v65
	v_fma_f32 v65, 0xbeb58ec6, v25, -v65
	v_dual_fmamk_f32 v118, v25, 0xbf788fa5, v43 :: v_dual_add_f32 v21, v23, v21
	v_fma_f32 v25, 0xbf788fa5, v25, -v43
	v_dual_fmamk_f32 v121, v36, 0x3f6f5d39, v72 :: v_dual_add_f32 v66, v66, v1
	v_dual_fmamk_f32 v122, v27, 0xbf788fa5, v73 :: v_dual_add_f32 v117, v117, v1
	v_add_f32_e32 v64, v64, v1
	v_dual_mul_f32 v94, 0xbeb58ec6, v55 :: v_dual_add_f32 v111, v111, v1
	v_add_f32_e32 v116, v116, v0
	v_dual_mul_f32 v102, 0x3df6dbef, v59 :: v_dual_add_f32 v113, v113, v1
	v_add_f32_e32 v1, v42, v1
	v_dual_fmamk_f32 v43, v36, 0x3f52af12, v70 :: v_dual_add_f32 v114, v114, v0
	v_dual_mul_f32 v96, 0x3f62ad3f, v55 :: v_dual_fmamk_f32 v131, v39, 0x3f62ad3f, v82
	v_dual_mul_f32 v98, 0xbf788fa5, v55 :: v_dual_add_f32 v61, v61, v0
	v_dual_mul_f32 v99, 0xbf29c268, v58 :: v_dual_fmamk_f32 v142, v56, 0xbf29c268, v95
	v_dual_mul_f32 v103, 0xbf52af12, v58 :: v_dual_add_f32 v40, v40, v0
	v_fmac_f32_e32 v70, 0xbf52af12, v36
	v_dual_mul_f32 v55, 0x3f116cb1, v55 :: v_dual_fmamk_f32 v26, v27, 0x3f116cb1, v69
	v_fma_f32 v69, 0x3f116cb1, v27, -v69
	v_fmac_f32_e32 v72, 0xbf6f5d39, v36
	v_dual_fmamk_f32 v120, v27, 0xbeb58ec6, v71 :: v_dual_add_f32 v65, v65, v0
	v_fma_f32 v71, 0xbeb58ec6, v27, -v71
	v_dual_fmamk_f32 v123, v36, 0x3e750f2a, v74 :: v_dual_add_f32 v118, v118, v0
	v_dual_fmac_f32 v74, 0xbe750f2a, v36 :: v_dual_add_f32 v43, v43, v109
	v_dual_fmamk_f32 v125, v36, 0xbf29c268, v76 :: v_dual_add_f32 v26, v26, v108
	v_fmac_f32_e32 v76, 0x3f29c268, v36
	v_dual_fmamk_f32 v124, v27, 0xbf3f9e67, v75 :: v_dual_add_f32 v41, v70, v41
	v_fma_f32 v75, 0xbf3f9e67, v27, -v75
	v_dual_fmamk_f32 v127, v36, 0xbf7e222b, v78 :: v_dual_add_f32 v40, v69, v40
	v_fmac_f32_e32 v78, 0x3f7e222b, v36
	v_dual_fmamk_f32 v126, v27, 0x3df6dbef, v77 :: v_dual_add_f32 v111, v121, v111
	v_fmamk_f32 v129, v36, 0xbeedf032, v48
	v_fmac_f32_e32 v48, 0x3eedf032, v36
	v_dual_fmamk_f32 v37, v52, 0x3f7e222b, v84 :: v_dual_add_f32 v64, v74, v64
	v_fmamk_f32 v38, v52, 0x3e750f2a, v85
	v_dual_fmac_f32 v85, 0xbe750f2a, v52 :: v_dual_add_f32 v22, v24, v22
	v_dual_mul_f32 v100, 0xbf3f9e67, v59 :: v_dual_fmamk_f32 v133, v39, 0xbf3f9e67, v50
	v_dual_mul_f32 v104, 0x3f116cb1, v59 :: v_dual_add_f32 v63, v63, v0
	v_dual_mul_f32 v105, 0x3e750f2a, v58 :: v_dual_add_f32 v110, v110, v0
	v_fma_f32 v73, 0xbf788fa5, v27, -v73
	v_fma_f32 v77, 0x3df6dbef, v27, -v77
	v_fmamk_f32 v128, v27, 0x3f62ad3f, v49
	v_fma_f32 v27, 0x3f62ad3f, v27, -v49
	s_delay_alu instid0(VALU_DEP_4)
	v_dual_fmamk_f32 v36, v39, 0x3df6dbef, v79 :: v_dual_add_f32 v63, v73, v63
	v_fma_f32 v49, 0x3df6dbef, v39, -v79
	v_fmamk_f32 v79, v39, 0xbf788fa5, v80
	v_fma_f32 v80, 0xbf788fa5, v39, -v80
	v_dual_fmamk_f32 v130, v39, 0xbeb58ec6, v81 :: v_dual_add_f32 v73, v124, v114
	v_fma_f32 v81, 0xbeb58ec6, v39, -v81
	v_fma_f32 v82, 0x3f62ad3f, v39, -v82
	v_dual_fmac_f32 v84, 0xbf7e222b, v52 :: v_dual_add_f32 v61, v71, v61
	v_dual_fmamk_f32 v134, v52, 0xbeedf032, v87 :: v_dual_add_f32 v65, v75, v65
	v_dual_fmac_f32 v87, 0x3eedf032, v52 :: v_dual_add_f32 v110, v120, v110
	v_dual_fmamk_f32 v135, v52, 0x3f52af12, v88 :: v_dual_add_f32 v74, v125, v115
	v_fmac_f32_e32 v88, 0xbf52af12, v52
	v_dual_fmamk_f32 v132, v39, 0x3f116cb1, v83 :: v_dual_add_f32 v75, v126, v116
	v_fma_f32 v83, 0x3f116cb1, v39, -v83
	v_fma_f32 v39, 0xbf3f9e67, v39, -v50
	v_fmamk_f32 v50, v52, 0xbf6f5d39, v86
	v_fmac_f32_e32 v86, 0x3f6f5d39, v52
	v_fma_f32 v90, 0xbf3f9e67, v54, -v90
	v_dual_fmamk_f32 v138, v54, 0x3f62ad3f, v91 :: v_dual_add_f32 v1, v48, v1
	v_fma_f32 v91, 0x3f62ad3f, v54, -v91
	v_fma_f32 v92, 0x3df6dbef, v54, -v92
	v_dual_fmamk_f32 v140, v54, 0xbf788fa5, v93 :: v_dual_add_f32 v19, v21, v19
	v_fma_f32 v93, 0xbf788fa5, v54, -v93
	v_fma_f32 v53, 0x3f116cb1, v54, -v53
	v_dual_fmamk_f32 v143, v56, 0xbeedf032, v96 :: v_dual_add_f32 v0, v25, v0
	v_dual_fmamk_f32 v25, v56, 0xbe750f2a, v98 :: v_dual_add_f32 v68, v78, v68
	;; [unrolled: 1-line block ×4, first 2 shown]
	v_add_f32_e32 v71, v122, v112
	v_fmamk_f32 v52, v54, 0xbeb58ec6, v89
	v_fma_f32 v89, 0xbeb58ec6, v54, -v89
	v_fmamk_f32 v54, v56, 0x3f6f5d39, v94
	v_add_f32_e32 v76, v127, v117
	v_dual_add_f32 v20, v22, v20 :: v_dual_add_f32 v1, v51, v1
	v_add_f32_e32 v22, v37, v43
	v_dual_add_f32 v37, v38, v111 :: v_dual_fmac_f32 v94, 0xbf6f5d39, v56
	v_add_f32_e32 v21, v36, v26
	v_dual_fmac_f32 v95, 0x3f29c268, v56 :: v_dual_fmamk_f32 v24, v60, 0x3f29c268, v100
	v_fmamk_f32 v120, v57, 0xbf788fa5, v105
	v_dual_fmamk_f32 v121, v60, 0xbe750f2a, v106 :: v_dual_add_f32 v0, v27, v0
	v_dual_add_f32 v72, v123, v113 :: v_dual_add_f32 v67, v77, v67
	v_dual_add_f32 v26, v49, v40 :: v_dual_add_f32 v19, v19, v5
	;; [unrolled: 1-line block ×4, first 2 shown]
	v_dual_mul_f32 v107, 0x3eedf032, v58 :: v_dual_fmac_f32 v96, 0x3eedf032, v56
	v_dual_fmac_f32 v98, 0x3e750f2a, v56 :: v_dual_add_f32 v27, v84, v41
	v_dual_fmamk_f32 v42, v56, 0xbf52af12, v55 :: v_dual_add_f32 v41, v130, v71
	v_dual_fmac_f32 v55, 0x3f52af12, v56 :: v_dual_fmamk_f32 v70, v60, 0x3f52af12, v104
	v_dual_mul_f32 v56, 0x3f62ad3f, v59 :: v_dual_add_f32 v43, v50, v72
	v_dual_fmamk_f32 v108, v57, 0x3df6dbef, v101 :: v_dual_add_f32 v49, v86, v64
	v_dual_fmamk_f32 v109, v60, 0xbf7e222b, v102 :: v_dual_add_f32 v78, v129, v119
	v_dual_fmac_f32 v102, 0x3f7e222b, v60 :: v_dual_add_f32 v77, v128, v118
	v_dual_add_f32 v48, v81, v63 :: v_dual_add_f32 v19, v19, v6
	v_add_f32_e32 v63, v87, v66
	v_dual_add_f32 v66, v83, v67 :: v_dual_add_f32 v25, v25, v65
	v_add_f32_e32 v0, v39, v0
	v_add_f32_e32 v39, v95, v40
	v_dual_add_f32 v50, v131, v73 :: v_dual_add_f32 v51, v92, v62
	v_add_f32_e32 v20, v20, v7
	v_fma_f32 v99, 0xbf3f9e67, v57, -v99
	v_fmac_f32_e32 v100, 0xbf29c268, v60
	v_fma_f32 v101, 0x3df6dbef, v57, -v101
	v_dual_add_f32 v36, v79, v110 :: v_dual_add_f32 v21, v52, v21
	v_dual_add_f32 v38, v80, v61 :: v_dual_add_f32 v27, v94, v27
	;; [unrolled: 1-line block ×10, first 2 shown]
	v_add_f32_e32 v0, v19, v13
	v_dual_add_f32 v13, v23, v21 :: v_dual_add_f32 v36, v137, v36
	v_add_f32_e32 v1, v20, v18
	v_add_f32_e32 v22, v54, v22
	;; [unrolled: 1-line block ×3, first 2 shown]
	v_fma_f32 v103, 0x3f116cb1, v57, -v103
	v_add_f32_e32 v52, v97, v63
	v_dual_add_f32 v1, v1, v17 :: v_dual_add_f32 v62, v98, v67
	v_dual_add_f32 v17, v109, v37 :: v_dual_fmac_f32 v106, 0x3e750f2a, v60
	v_dual_fmac_f32 v104, 0xbf52af12, v60 :: v_dual_add_f32 v71, v136, v78
	s_delay_alu instid0(VALU_DEP_3) | instskip(SKIP_3) | instid1(VALU_DEP_4)
	v_dual_add_f32 v1, v1, v16 :: v_dual_add_f32 v16, v102, v39
	v_fma_f32 v105, 0xbf788fa5, v57, -v105
	v_dual_add_f32 v63, v141, v68 :: v_dual_add_f32 v18, v24, v22
	v_add_f32_e32 v23, v70, v41
	v_dual_add_f32 v1, v1, v15 :: v_dual_add_f32 v0, v0, v9
	v_add_f32_e32 v15, v103, v43
	v_add_f32_e32 v9, v108, v36
	;; [unrolled: 1-line block ×5, first 2 shown]
	v_fmamk_f32 v10, v57, 0x3f62ad3f, v107
	v_dual_add_f32 v42, v42, v71 :: v_dual_add_f32 v1, v1, v14
	v_dual_add_f32 v20, v100, v27 :: v_dual_add_f32 v27, v121, v50
	s_delay_alu instid0(VALU_DEP_4) | instskip(SKIP_2) | instid1(VALU_DEP_3)
	v_add_f32_e32 v0, v0, v11
	v_dual_fmamk_f32 v11, v60, 0xbeedf032, v56 :: v_dual_add_f32 v22, v69, v40
	v_dual_sub_f32 v40, v7, v8 :: v_dual_add_f32 v21, v101, v38
	v_add_f32_e32 v0, v0, v12
	s_delay_alu instid0(VALU_DEP_3) | instskip(SKIP_3) | instid1(VALU_DEP_4)
	v_dual_mul_f32 v12, 0xbf6f5d39, v58 :: v_dual_add_f32 v25, v11, v25
	v_add_f32_e32 v36, v105, v51
	v_mul_f32_e32 v14, 0xbeb58ec6, v59
	v_sub_f32_e32 v50, v5, v6
	v_dual_fmamk_f32 v11, v57, 0xbeb58ec6, v12 :: v_dual_add_f32 v26, v120, v49
	v_add_f32_e32 v49, v7, v8
	s_delay_alu instid0(VALU_DEP_2) | instskip(SKIP_3) | instid1(VALU_DEP_2)
	v_add_f32_e32 v43, v11, v63
	v_dual_mul_f32 v11, 0xbe750f2a, v40 :: v_dual_add_f32 v38, v10, v54
	v_fma_f32 v10, 0x3f62ad3f, v57, -v107
	v_add_f32_e32 v24, v104, v48
	v_dual_add_f32 v48, v5, v6 :: v_dual_add_f32 v39, v10, v61
	v_fmamk_f32 v10, v60, 0x3f6f5d39, v14
	s_delay_alu instid0(VALU_DEP_1) | instskip(NEXT) | instid1(VALU_DEP_1)
	v_dual_fmamk_f32 v5, v48, 0xbf788fa5, v11 :: v_dual_add_f32 v42, v10, v42
	v_add_f32_e32 v5, v5, v13
	v_fma_f32 v7, 0xbeb58ec6, v57, -v12
	v_mul_f32_e32 v10, 0x3eedf032, v40
	v_mul_f32_e32 v12, 0x3f62ad3f, v49
	s_delay_alu instid0(VALU_DEP_3) | instskip(NEXT) | instid1(VALU_DEP_2)
	v_add_f32_e32 v51, v7, v53
	v_fmamk_f32 v13, v50, 0xbeedf032, v12
	v_fma_f32 v7, 0xbf788fa5, v48, -v11
	v_fmamk_f32 v11, v48, 0x3f62ad3f, v10
	s_delay_alu instid0(VALU_DEP_2) | instskip(NEXT) | instid1(VALU_DEP_2)
	v_dual_fmac_f32 v56, 0x3eedf032, v60 :: v_dual_add_f32 v7, v7, v19
	v_dual_add_f32 v9, v11, v9 :: v_dual_fmac_f32 v14, 0xbf6f5d39, v60
	v_fma_f32 v11, 0x3f62ad3f, v48, -v10
	v_add_f32_e32 v10, v13, v17
	v_mul_f32_e32 v17, 0xbf3f9e67, v49
	s_delay_alu instid0(VALU_DEP_4) | instskip(NEXT) | instid1(VALU_DEP_4)
	v_dual_add_f32 v41, v56, v62 :: v_dual_add_f32 v52, v14, v55
	v_dual_mul_f32 v14, 0xbf29c268, v40 :: v_dual_add_f32 v11, v11, v21
	v_mul_f32_e32 v21, 0x3f116cb1, v49
	s_delay_alu instid0(VALU_DEP_2) | instskip(SKIP_2) | instid1(VALU_DEP_3)
	v_fma_f32 v19, 0xbf3f9e67, v48, -v14
	v_mul_f32_e32 v8, 0xbf788fa5, v49
	v_fmamk_f32 v13, v48, 0xbf3f9e67, v14
	v_dual_fmac_f32 v12, 0x3eedf032, v50 :: v_dual_add_f32 v15, v19, v15
	s_delay_alu instid0(VALU_DEP_3) | instskip(SKIP_1) | instid1(VALU_DEP_3)
	v_fmamk_f32 v6, v50, 0x3e750f2a, v8
	v_fmac_f32_e32 v8, 0xbe750f2a, v50
	v_add_f32_e32 v12, v12, v16
	v_fmamk_f32 v16, v50, 0x3f29c268, v17
	v_fmac_f32_e32 v17, 0xbf29c268, v50
	v_add_f32_e32 v6, v6, v18
	v_mul_f32_e32 v18, 0x3f52af12, v40
	v_dual_add_f32 v8, v8, v20 :: v_dual_fmamk_f32 v19, v50, 0xbf52af12, v21
	v_dual_add_f32 v13, v13, v22 :: v_dual_add_f32 v14, v16, v23
	s_delay_alu instid0(VALU_DEP_3) | instskip(SKIP_2) | instid1(VALU_DEP_3)
	v_fmamk_f32 v20, v48, 0x3f116cb1, v18
	v_mul_f32_e32 v22, 0xbf6f5d39, v40
	v_dual_add_f32 v16, v17, v24 :: v_dual_fmac_f32 v21, 0x3f52af12, v50
	v_dual_mul_f32 v24, 0xbeb58ec6, v49 :: v_dual_add_f32 v17, v20, v26
	s_delay_alu instid0(VALU_DEP_3) | instskip(SKIP_2) | instid1(VALU_DEP_4)
	v_fmamk_f32 v23, v48, 0xbeb58ec6, v22
	v_fma_f32 v20, 0x3f116cb1, v48, -v18
	v_add_f32_e32 v18, v19, v27
	v_fmamk_f32 v26, v50, 0x3f6f5d39, v24
	v_fma_f32 v27, 0xbeb58ec6, v48, -v22
	s_delay_alu instid0(VALU_DEP_4)
	v_dual_fmac_f32 v24, 0xbf6f5d39, v50 :: v_dual_add_f32 v19, v20, v36
	v_add_f32_e32 v20, v21, v37
	v_mul_f32_e32 v36, 0x3f7e222b, v40
	v_mul_f32_e32 v37, 0x3df6dbef, v49
	v_dual_add_f32 v21, v23, v38 :: v_dual_add_f32 v22, v26, v25
	v_add_f32_e32 v23, v27, v39
	s_delay_alu instid0(VALU_DEP_4) | instskip(NEXT) | instid1(VALU_DEP_4)
	v_fmamk_f32 v25, v48, 0x3df6dbef, v36
	v_fmamk_f32 v26, v50, 0xbf7e222b, v37
	v_fma_f32 v27, 0x3df6dbef, v48, -v36
	v_dual_fmac_f32 v37, 0x3f7e222b, v50 :: v_dual_add_f32 v24, v24, v41
	s_delay_alu instid0(VALU_DEP_3) | instskip(NEXT) | instid1(VALU_DEP_3)
	v_dual_add_f32 v25, v25, v43 :: v_dual_add_f32 v26, v26, v42
	v_dual_add_f32 v36, v27, v51 :: v_dual_add_nc_u32 v27, 0xc00, v46
	s_delay_alu instid0(VALU_DEP_3)
	v_add_f32_e32 v37, v37, v52
	ds_store_2addr_b64 v46, v[0:1], v[5:6] offset1:78
	ds_store_2addr_b64 v46, v[9:10], v[13:14] offset0:156 offset1:234
	ds_store_2addr_b64 v4, v[17:18], v[21:22] offset0:56 offset1:134
	;; [unrolled: 1-line block ×5, first 2 shown]
	ds_store_b64 v46, v[7:8] offset:7488
	global_wb scope:SCOPE_SE
	s_wait_dscnt 0x0
	s_barrier_signal -1
	s_barrier_wait -1
	global_inv scope:SCOPE_SE
	ds_load_b64 v[4:5], v45
	v_sub_nc_u32_e32 v6, v44, v31
                                        ; implicit-def: $vgpr1
                                        ; implicit-def: $vgpr7
                                        ; implicit-def: $vgpr2_vgpr3
	v_cmpx_ne_u32_e32 0, v30
	s_wait_alu 0xfffe
	s_xor_b32 s1, exec_lo, s1
	s_cbranch_execz .LBB0_19
; %bb.18:
	ds_load_b64 v[7:8], v6 offset:8112
	v_mov_b32_e32 v31, 0
	s_delay_alu instid0(VALU_DEP_1) | instskip(NEXT) | instid1(VALU_DEP_1)
	v_lshlrev_b64_e32 v[0:1], 3, v[30:31]
	v_add_co_u32 v0, s0, s8, v0
	s_wait_alu 0xf1ff
	s_delay_alu instid0(VALU_DEP_2)
	v_add_co_ci_u32_e64 v1, s0, s9, v1, s0
	global_load_b64 v[1:2], v[0:1], off offset:8008
	s_wait_dscnt 0x0
	v_sub_f32_e32 v0, v4, v7
	v_add_f32_e32 v3, v8, v5
	v_sub_f32_e32 v5, v5, v8
	s_delay_alu instid0(VALU_DEP_3) | instskip(NEXT) | instid1(VALU_DEP_3)
	v_mul_f32_e32 v8, 0.5, v0
	v_dual_add_f32 v0, v7, v4 :: v_dual_mul_f32 v3, 0.5, v3
	s_wait_loadcnt 0x0
	s_delay_alu instid0(VALU_DEP_2) | instskip(NEXT) | instid1(VALU_DEP_1)
	v_dual_mul_f32 v4, 0.5, v5 :: v_dual_mul_f32 v5, v2, v8
	v_fma_f32 v7, v3, v2, v4
	v_fma_f32 v2, v3, v2, -v4
	s_delay_alu instid0(VALU_DEP_3) | instskip(SKIP_1) | instid1(VALU_DEP_4)
	v_fma_f32 v9, 0.5, v0, v5
	v_fma_f32 v0, v0, 0.5, -v5
	v_fma_f32 v7, -v1, v8, v7
                                        ; implicit-def: $vgpr4_vgpr5
	s_delay_alu instid0(VALU_DEP_3) | instskip(NEXT) | instid1(VALU_DEP_3)
	v_fmac_f32_e32 v9, v1, v3
	v_fma_f32 v0, -v1, v3, v0
	v_fma_f32 v1, -v1, v8, v2
	v_dual_mov_b32 v2, v30 :: v_dual_mov_b32 v3, v31
	ds_store_b32 v45, v9
.LBB0_19:
	s_wait_alu 0xfffe
	s_and_not1_saveexec_b32 s0, s1
	s_cbranch_execz .LBB0_21
; %bb.20:
	ds_load_b32 v1, v44 offset:4060
	s_wait_dscnt 0x1
	v_dual_mov_b32 v7, 0 :: v_dual_add_f32 v8, v4, v5
	v_mov_b32_e32 v2, 0
	v_dual_sub_f32 v0, v4, v5 :: v_dual_mov_b32 v3, 0
	s_wait_dscnt 0x0
	v_xor_b32_e32 v4, 0x80000000, v1
	v_mov_b32_e32 v1, v7
	ds_store_b32 v45, v8
	ds_store_b32 v44, v4 offset:4060
.LBB0_21:
	s_wait_alu 0xfffe
	s_or_b32 exec_lo, exec_lo, s0
	v_mov_b32_e32 v36, 0
	v_lshlrev_b64_e32 v[2:3], 3, v[2:3]
	s_wait_dscnt 0x0
	s_delay_alu instid0(VALU_DEP_2) | instskip(SKIP_1) | instid1(VALU_DEP_1)
	v_lshlrev_b64_e32 v[4:5], 3, v[35:36]
	v_mov_b32_e32 v35, v36
	v_lshlrev_b64_e32 v[8:9], 3, v[34:35]
	s_delay_alu instid0(VALU_DEP_3) | instskip(SKIP_1) | instid1(VALU_DEP_4)
	v_add_co_u32 v4, s0, s8, v4
	s_wait_alu 0xf1ff
	v_add_co_ci_u32_e64 v5, s0, s9, v5, s0
	s_delay_alu instid0(VALU_DEP_3)
	v_add_co_u32 v8, s0, s8, v8
	global_load_b64 v[4:5], v[4:5], off offset:8008
	s_wait_alu 0xf1ff
	v_add_co_ci_u32_e64 v9, s0, s9, v9, s0
	s_add_nc_u64 s[0:1], s[8:9], 0x1f48
	s_wait_alu 0xfffe
	v_add_co_u32 v2, s0, s0, v2
	global_load_b64 v[8:9], v[8:9], off offset:8008
	s_wait_alu 0xf1ff
	v_add_co_ci_u32_e64 v3, s0, s1, v3, s0
	s_clause 0x2
	global_load_b64 v[10:11], v[2:3], off offset:1872
	global_load_b64 v[12:13], v[2:3], off offset:2496
	;; [unrolled: 1-line block ×3, first 2 shown]
	ds_store_b32 v45, v7 offset:4
	ds_store_b64 v6, v[0:1] offset:8112
	ds_load_b64 v[0:1], v47
	ds_load_b64 v[16:17], v6 offset:7488
	s_mov_b32 s1, exec_lo
	s_wait_dscnt 0x0
	v_dual_sub_f32 v7, v0, v16 :: v_dual_add_f32 v18, v1, v17
	v_dual_sub_f32 v1, v1, v17 :: v_dual_add_f32 v16, v0, v16
	s_delay_alu instid0(VALU_DEP_2) | instskip(NEXT) | instid1(VALU_DEP_3)
	v_mul_f32_e32 v17, 0.5, v18
	v_mul_f32_e32 v7, 0.5, v7
	s_wait_loadcnt 0x4
	s_delay_alu instid0(VALU_DEP_1) | instskip(NEXT) | instid1(VALU_DEP_1)
	v_dual_mul_f32 v1, 0.5, v1 :: v_dual_mul_f32 v18, v5, v7
	v_fma_f32 v19, v17, v5, v1
	v_fma_f32 v5, v17, v5, -v1
	s_delay_alu instid0(VALU_DEP_3) | instskip(SKIP_1) | instid1(VALU_DEP_2)
	v_fma_f32 v0, 0.5, v16, v18
	v_fma_f32 v16, v16, 0.5, -v18
	v_fmac_f32_e32 v0, v4, v17
	v_fma_f32 v1, -v4, v7, v19
	v_fma_f32 v5, -v4, v7, v5
	s_delay_alu instid0(VALU_DEP_4)
	v_fma_f32 v4, -v4, v17, v16
	v_lshl_add_u32 v7, v34, 3, v44
	ds_store_b64 v47, v[0:1]
	ds_store_b64 v6, v[4:5] offset:7488
	ds_load_b64 v[0:1], v7
	ds_load_b64 v[4:5], v6 offset:6864
	s_wait_dscnt 0x0
	v_dual_sub_f32 v16, v0, v4 :: v_dual_add_f32 v17, v1, v5
	v_dual_add_f32 v4, v0, v4 :: v_dual_sub_f32 v1, v1, v5
	s_delay_alu instid0(VALU_DEP_2) | instskip(SKIP_1) | instid1(VALU_DEP_1)
	v_dual_mul_f32 v5, 0.5, v16 :: v_dual_mul_f32 v16, 0.5, v17
	s_wait_loadcnt 0x3
	v_mul_f32_e32 v17, v9, v5
	s_delay_alu instid0(VALU_DEP_1) | instskip(SKIP_1) | instid1(VALU_DEP_2)
	v_fma_f32 v0, 0.5, v4, v17
	v_fma_f32 v4, v4, 0.5, -v17
	v_dual_fmac_f32 v0, v8, v16 :: v_dual_mul_f32 v1, 0.5, v1
	s_delay_alu instid0(VALU_DEP_2) | instskip(NEXT) | instid1(VALU_DEP_2)
	v_fma_f32 v4, -v8, v16, v4
	v_fma_f32 v18, v16, v9, v1
	v_fma_f32 v9, v16, v9, -v1
	s_delay_alu instid0(VALU_DEP_2) | instskip(NEXT) | instid1(VALU_DEP_2)
	v_fma_f32 v1, -v8, v5, v18
	v_fma_f32 v5, -v8, v5, v9
	ds_store_b64 v7, v[0:1]
	ds_store_b64 v6, v[4:5] offset:6864
	ds_load_b64 v[0:1], v45 offset:1872
	ds_load_b64 v[4:5], v6 offset:6240
	s_wait_dscnt 0x0
	v_dual_sub_f32 v7, v0, v4 :: v_dual_add_f32 v8, v1, v5
	v_dual_sub_f32 v1, v1, v5 :: v_dual_add_f32 v4, v0, v4
	s_delay_alu instid0(VALU_DEP_2) | instskip(NEXT) | instid1(VALU_DEP_3)
	v_mul_f32_e32 v5, 0.5, v7
	v_mul_f32_e32 v7, 0.5, v8
	s_delay_alu instid0(VALU_DEP_3) | instskip(SKIP_1) | instid1(VALU_DEP_3)
	v_mul_f32_e32 v1, 0.5, v1
	s_wait_loadcnt 0x2
	v_mul_f32_e32 v8, v11, v5
	s_delay_alu instid0(VALU_DEP_2) | instskip(SKIP_1) | instid1(VALU_DEP_3)
	v_fma_f32 v9, v7, v11, v1
	v_fma_f32 v11, v7, v11, -v1
	v_fma_f32 v0, 0.5, v4, v8
	v_fma_f32 v4, v4, 0.5, -v8
	s_delay_alu instid0(VALU_DEP_4) | instskip(NEXT) | instid1(VALU_DEP_4)
	v_fma_f32 v1, -v10, v5, v9
	v_fma_f32 v5, -v10, v5, v11
	s_delay_alu instid0(VALU_DEP_4) | instskip(NEXT) | instid1(VALU_DEP_4)
	v_fmac_f32_e32 v0, v10, v7
	v_fma_f32 v4, -v10, v7, v4
	ds_store_b64 v45, v[0:1] offset:1872
	ds_store_b64 v6, v[4:5] offset:6240
	ds_load_b64 v[0:1], v45 offset:2496
	ds_load_b64 v[4:5], v6 offset:5616
	s_wait_dscnt 0x0
	v_dual_sub_f32 v7, v0, v4 :: v_dual_add_f32 v8, v1, v5
	v_dual_sub_f32 v1, v1, v5 :: v_dual_add_f32 v4, v0, v4
	s_delay_alu instid0(VALU_DEP_2) | instskip(NEXT) | instid1(VALU_DEP_3)
	v_mul_f32_e32 v5, 0.5, v7
	v_mul_f32_e32 v7, 0.5, v8
	s_delay_alu instid0(VALU_DEP_3) | instskip(SKIP_1) | instid1(VALU_DEP_3)
	v_mul_f32_e32 v1, 0.5, v1
	s_wait_loadcnt 0x1
	v_mul_f32_e32 v8, v13, v5
	s_delay_alu instid0(VALU_DEP_2) | instskip(SKIP_1) | instid1(VALU_DEP_3)
	v_fma_f32 v9, v7, v13, v1
	v_fma_f32 v10, v7, v13, -v1
	v_fma_f32 v0, 0.5, v4, v8
	v_fma_f32 v4, v4, 0.5, -v8
	s_delay_alu instid0(VALU_DEP_4) | instskip(NEXT) | instid1(VALU_DEP_4)
	v_fma_f32 v1, -v12, v5, v9
	v_fma_f32 v5, -v12, v5, v10
	s_delay_alu instid0(VALU_DEP_4) | instskip(NEXT) | instid1(VALU_DEP_4)
	v_fmac_f32_e32 v0, v12, v7
	v_fma_f32 v4, -v12, v7, v4
	ds_store_b64 v45, v[0:1] offset:2496
	;; [unrolled: 25-line block ×3, first 2 shown]
	ds_store_b64 v6, v[4:5] offset:4992
	v_cmpx_gt_u32_e32 39, v30
	s_cbranch_execz .LBB0_23
; %bb.22:
	global_load_b64 v[0:1], v[2:3], off offset:3744
	ds_load_b64 v[2:3], v45 offset:3744
	ds_load_b64 v[4:5], v6 offset:4368
	s_wait_dscnt 0x0
	v_dual_sub_f32 v7, v2, v4 :: v_dual_add_f32 v8, v3, v5
	v_dual_sub_f32 v3, v3, v5 :: v_dual_add_f32 v2, v2, v4
	s_delay_alu instid0(VALU_DEP_2) | instskip(NEXT) | instid1(VALU_DEP_3)
	v_mul_f32_e32 v5, 0.5, v7
	v_mul_f32_e32 v7, 0.5, v8
	s_wait_loadcnt 0x0
	s_delay_alu instid0(VALU_DEP_2) | instskip(NEXT) | instid1(VALU_DEP_1)
	v_dual_mul_f32 v3, 0.5, v3 :: v_dual_mul_f32 v4, v1, v5
	v_fma_f32 v8, v7, v1, v3
	v_fma_f32 v3, v7, v1, -v3
	s_delay_alu instid0(VALU_DEP_3) | instskip(SKIP_1) | instid1(VALU_DEP_4)
	v_fma_f32 v1, 0.5, v2, v4
	v_fma_f32 v9, v2, 0.5, -v4
	v_fma_f32 v2, -v0, v5, v8
	s_delay_alu instid0(VALU_DEP_4) | instskip(NEXT) | instid1(VALU_DEP_4)
	v_fma_f32 v4, -v0, v5, v3
	v_fmac_f32_e32 v1, v0, v7
	s_delay_alu instid0(VALU_DEP_4)
	v_fma_f32 v3, -v0, v7, v9
	ds_store_b64 v45, v[1:2] offset:3744
	ds_store_b64 v6, v[3:4] offset:4368
.LBB0_23:
	s_wait_alu 0xfffe
	s_or_b32 exec_lo, exec_lo, s1
	global_wb scope:SCOPE_SE
	s_wait_dscnt 0x0
	s_barrier_signal -1
	s_barrier_wait -1
	global_inv scope:SCOPE_SE
	s_and_saveexec_b32 s0, vcc_lo
	s_cbranch_execz .LBB0_26
; %bb.24:
	v_mul_lo_u32 v3, s3, v32
	v_mul_lo_u32 v4, s2, v33
	v_mad_co_u64_u32 v[0:1], null, s2, v32, 0
	v_mov_b32_e32 v31, 0
	v_lshlrev_b64_e32 v[11:12], 3, v[28:29]
	v_lshl_add_u32 v2, v30, 3, v44
	v_add_nc_u32_e32 v15, 0x9c, v30
	s_delay_alu instid0(VALU_DEP_4)
	v_dual_mov_b32 v14, v31 :: v_dual_add_nc_u32 v13, 0x4e, v30
	v_add3_u32 v1, v1, v4, v3
	v_lshlrev_b64_e32 v[17:18], 3, v[30:31]
	v_mov_b32_e32 v16, v31
	ds_load_2addr_b64 v[3:6], v2 offset1:78
	ds_load_2addr_b64 v[7:10], v2 offset0:156 offset1:234
	v_lshlrev_b64_e32 v[0:1], 3, v[0:1]
	v_lshlrev_b64_e32 v[13:14], 3, v[13:14]
	v_dual_mov_b32 v20, v31 :: v_dual_add_nc_u32 v19, 0x138, v30
	v_add_nc_u32_e32 v21, 0x800, v2
	s_delay_alu instid0(VALU_DEP_4) | instskip(SKIP_2) | instid1(VALU_DEP_2)
	v_add_co_u32 v0, vcc_lo, s6, v0
	s_wait_alu 0xfffd
	v_add_co_ci_u32_e32 v1, vcc_lo, s7, v1, vcc_lo
	v_add_co_u32 v0, vcc_lo, v0, v11
	s_wait_alu 0xfffd
	s_delay_alu instid0(VALU_DEP_2) | instskip(SKIP_1) | instid1(VALU_DEP_3)
	v_add_co_ci_u32_e32 v1, vcc_lo, v1, v12, vcc_lo
	v_lshlrev_b64_e32 v[11:12], 3, v[15:16]
	v_add_co_u32 v15, vcc_lo, v0, v17
	s_wait_alu 0xfffd
	s_delay_alu instid0(VALU_DEP_3) | instskip(SKIP_4) | instid1(VALU_DEP_3)
	v_add_co_ci_u32_e32 v16, vcc_lo, v1, v18, vcc_lo
	v_dual_mov_b32 v18, v31 :: v_dual_add_nc_u32 v17, 0xea, v30
	v_add_co_u32 v13, vcc_lo, v0, v13
	s_wait_alu 0xfffd
	v_add_co_ci_u32_e32 v14, vcc_lo, v1, v14, vcc_lo
	v_lshlrev_b64_e32 v[17:18], 3, v[17:18]
	v_add_co_u32 v11, vcc_lo, v0, v11
	s_wait_alu 0xfffd
	v_add_co_ci_u32_e32 v12, vcc_lo, v1, v12, vcc_lo
	s_delay_alu instid0(VALU_DEP_3)
	v_add_co_u32 v17, vcc_lo, v0, v17
	s_wait_alu 0xfffd
	v_add_co_ci_u32_e32 v18, vcc_lo, v1, v18, vcc_lo
	s_wait_dscnt 0x1
	s_clause 0x1
	global_store_b64 v[15:16], v[3:4], off
	global_store_b64 v[13:14], v[5:6], off
	s_wait_dscnt 0x0
	s_clause 0x1
	global_store_b64 v[11:12], v[7:8], off
	global_store_b64 v[17:18], v[9:10], off
	v_lshlrev_b64_e32 v[7:8], 3, v[19:20]
	v_dual_mov_b32 v12, v31 :: v_dual_add_nc_u32 v9, 0x186, v30
	v_dual_mov_b32 v10, v31 :: v_dual_add_nc_u32 v17, 0xc00, v2
	ds_load_2addr_b64 v[3:6], v21 offset0:56 offset1:134
	v_add_co_u32 v13, vcc_lo, v0, v7
	v_dual_mov_b32 v18, v31 :: v_dual_add_nc_u32 v11, 0x1d4, v30
	s_wait_alu 0xfffd
	v_add_co_ci_u32_e32 v14, vcc_lo, v1, v8, vcc_lo
	v_lshlrev_b64_e32 v[15:16], 3, v[9:10]
	ds_load_2addr_b64 v[7:10], v17 offset0:84 offset1:162
	v_add_nc_u32_e32 v17, 0x222, v30
	v_lshlrev_b64_e32 v[11:12], 3, v[11:12]
	v_add_nc_u32_e32 v19, 0x270, v30
	v_add_nc_u32_e32 v21, 0x1000, v2
	v_add_co_u32 v15, vcc_lo, v0, v15
	v_lshlrev_b64_e32 v[17:18], 3, v[17:18]
	s_wait_alu 0xfffd
	v_add_co_ci_u32_e32 v16, vcc_lo, v1, v16, vcc_lo
	v_add_co_u32 v11, vcc_lo, v0, v11
	s_wait_alu 0xfffd
	v_add_co_ci_u32_e32 v12, vcc_lo, v1, v12, vcc_lo
	v_add_co_u32 v17, vcc_lo, v0, v17
	s_wait_alu 0xfffd
	v_add_co_ci_u32_e32 v18, vcc_lo, v1, v18, vcc_lo
	s_wait_dscnt 0x1
	s_clause 0x1
	global_store_b64 v[13:14], v[3:4], off
	global_store_b64 v[15:16], v[5:6], off
	s_wait_dscnt 0x0
	s_clause 0x1
	global_store_b64 v[11:12], v[7:8], off
	global_store_b64 v[17:18], v[9:10], off
	v_dual_mov_b32 v8, v31 :: v_dual_add_nc_u32 v7, 0x2be, v30
	v_mov_b32_e32 v16, v31
	v_lshlrev_b64_e32 v[19:20], 3, v[19:20]
	v_dual_mov_b32 v14, v31 :: v_dual_add_nc_u32 v13, 0x30c, v30
	s_delay_alu instid0(VALU_DEP_4)
	v_lshlrev_b64_e32 v[7:8], 3, v[7:8]
	v_add_nc_u32_e32 v9, 0x1800, v2
	v_add_nc_u32_e32 v15, 0x35a, v30
	v_add_co_u32 v11, vcc_lo, v0, v19
	s_wait_alu 0xfffd
	v_add_co_ci_u32_e32 v12, vcc_lo, v1, v20, vcc_lo
	v_mov_b32_e32 v20, v31
	ds_load_2addr_b64 v[3:6], v21 offset0:112 offset1:190
	v_add_co_u32 v17, vcc_lo, v0, v7
	v_lshlrev_b64_e32 v[13:14], 3, v[13:14]
	v_add_nc_u32_e32 v19, 0x3a8, v30
	s_wait_alu 0xfffd
	v_add_co_ci_u32_e32 v18, vcc_lo, v1, v8, vcc_lo
	ds_load_2addr_b64 v[7:10], v9 offset0:12 offset1:90
	v_lshlrev_b64_e32 v[15:16], 3, v[15:16]
	ds_load_b64 v[21:22], v2 offset:7488
	v_add_co_u32 v13, vcc_lo, v0, v13
	v_lshlrev_b64_e32 v[19:20], 3, v[19:20]
	s_wait_alu 0xfffd
	v_add_co_ci_u32_e32 v14, vcc_lo, v1, v14, vcc_lo
	v_add_co_u32 v15, vcc_lo, v0, v15
	s_wait_alu 0xfffd
	v_add_co_ci_u32_e32 v16, vcc_lo, v1, v16, vcc_lo
	v_add_co_u32 v19, vcc_lo, v0, v19
	s_wait_alu 0xfffd
	v_add_co_ci_u32_e32 v20, vcc_lo, v1, v20, vcc_lo
	v_cmp_eq_u32_e32 vcc_lo, 0x4d, v30
	s_wait_dscnt 0x2
	s_clause 0x1
	global_store_b64 v[11:12], v[3:4], off
	global_store_b64 v[17:18], v[5:6], off
	s_wait_dscnt 0x1
	s_clause 0x1
	global_store_b64 v[13:14], v[7:8], off
	global_store_b64 v[15:16], v[9:10], off
	s_wait_dscnt 0x0
	global_store_b64 v[19:20], v[21:22], off
	s_and_b32 exec_lo, exec_lo, vcc_lo
	s_cbranch_execz .LBB0_26
; %bb.25:
	ds_load_b64 v[2:3], v2 offset:7496
	s_wait_dscnt 0x0
	global_store_b64 v[0:1], v[2:3], off offset:8112
.LBB0_26:
	s_nop 0
	s_sendmsg sendmsg(MSG_DEALLOC_VGPRS)
	s_endpgm
	.section	.rodata,"a",@progbits
	.p2align	6, 0x0
	.amdhsa_kernel fft_rtc_back_len1014_factors_13_6_13_wgs_156_tpt_78_sp_op_CI_CI_unitstride_sbrr_R2C_dirReg
		.amdhsa_group_segment_fixed_size 0
		.amdhsa_private_segment_fixed_size 0
		.amdhsa_kernarg_size 104
		.amdhsa_user_sgpr_count 2
		.amdhsa_user_sgpr_dispatch_ptr 0
		.amdhsa_user_sgpr_queue_ptr 0
		.amdhsa_user_sgpr_kernarg_segment_ptr 1
		.amdhsa_user_sgpr_dispatch_id 0
		.amdhsa_user_sgpr_private_segment_size 0
		.amdhsa_wavefront_size32 1
		.amdhsa_uses_dynamic_stack 0
		.amdhsa_enable_private_segment 0
		.amdhsa_system_sgpr_workgroup_id_x 1
		.amdhsa_system_sgpr_workgroup_id_y 0
		.amdhsa_system_sgpr_workgroup_id_z 0
		.amdhsa_system_sgpr_workgroup_info 0
		.amdhsa_system_vgpr_workitem_id 0
		.amdhsa_next_free_vgpr 145
		.amdhsa_next_free_sgpr 39
		.amdhsa_reserve_vcc 1
		.amdhsa_float_round_mode_32 0
		.amdhsa_float_round_mode_16_64 0
		.amdhsa_float_denorm_mode_32 3
		.amdhsa_float_denorm_mode_16_64 3
		.amdhsa_fp16_overflow 0
		.amdhsa_workgroup_processor_mode 1
		.amdhsa_memory_ordered 1
		.amdhsa_forward_progress 0
		.amdhsa_round_robin_scheduling 0
		.amdhsa_exception_fp_ieee_invalid_op 0
		.amdhsa_exception_fp_denorm_src 0
		.amdhsa_exception_fp_ieee_div_zero 0
		.amdhsa_exception_fp_ieee_overflow 0
		.amdhsa_exception_fp_ieee_underflow 0
		.amdhsa_exception_fp_ieee_inexact 0
		.amdhsa_exception_int_div_zero 0
	.end_amdhsa_kernel
	.text
.Lfunc_end0:
	.size	fft_rtc_back_len1014_factors_13_6_13_wgs_156_tpt_78_sp_op_CI_CI_unitstride_sbrr_R2C_dirReg, .Lfunc_end0-fft_rtc_back_len1014_factors_13_6_13_wgs_156_tpt_78_sp_op_CI_CI_unitstride_sbrr_R2C_dirReg
                                        ; -- End function
	.section	.AMDGPU.csdata,"",@progbits
; Kernel info:
; codeLenInByte = 12440
; NumSgprs: 41
; NumVgprs: 145
; ScratchSize: 0
; MemoryBound: 0
; FloatMode: 240
; IeeeMode: 1
; LDSByteSize: 0 bytes/workgroup (compile time only)
; SGPRBlocks: 5
; VGPRBlocks: 18
; NumSGPRsForWavesPerEU: 41
; NumVGPRsForWavesPerEU: 145
; Occupancy: 9
; WaveLimiterHint : 1
; COMPUTE_PGM_RSRC2:SCRATCH_EN: 0
; COMPUTE_PGM_RSRC2:USER_SGPR: 2
; COMPUTE_PGM_RSRC2:TRAP_HANDLER: 0
; COMPUTE_PGM_RSRC2:TGID_X_EN: 1
; COMPUTE_PGM_RSRC2:TGID_Y_EN: 0
; COMPUTE_PGM_RSRC2:TGID_Z_EN: 0
; COMPUTE_PGM_RSRC2:TIDIG_COMP_CNT: 0
	.text
	.p2alignl 7, 3214868480
	.fill 96, 4, 3214868480
	.type	__hip_cuid_deed22a60f9e1348,@object ; @__hip_cuid_deed22a60f9e1348
	.section	.bss,"aw",@nobits
	.globl	__hip_cuid_deed22a60f9e1348
__hip_cuid_deed22a60f9e1348:
	.byte	0                               ; 0x0
	.size	__hip_cuid_deed22a60f9e1348, 1

	.ident	"AMD clang version 19.0.0git (https://github.com/RadeonOpenCompute/llvm-project roc-6.4.0 25133 c7fe45cf4b819c5991fe208aaa96edf142730f1d)"
	.section	".note.GNU-stack","",@progbits
	.addrsig
	.addrsig_sym __hip_cuid_deed22a60f9e1348
	.amdgpu_metadata
---
amdhsa.kernels:
  - .args:
      - .actual_access:  read_only
        .address_space:  global
        .offset:         0
        .size:           8
        .value_kind:     global_buffer
      - .offset:         8
        .size:           8
        .value_kind:     by_value
      - .actual_access:  read_only
        .address_space:  global
        .offset:         16
        .size:           8
        .value_kind:     global_buffer
      - .actual_access:  read_only
        .address_space:  global
        .offset:         24
        .size:           8
        .value_kind:     global_buffer
      - .actual_access:  read_only
        .address_space:  global
        .offset:         32
        .size:           8
        .value_kind:     global_buffer
      - .offset:         40
        .size:           8
        .value_kind:     by_value
      - .actual_access:  read_only
        .address_space:  global
        .offset:         48
        .size:           8
        .value_kind:     global_buffer
      - .actual_access:  read_only
        .address_space:  global
        .offset:         56
        .size:           8
        .value_kind:     global_buffer
      - .offset:         64
        .size:           4
        .value_kind:     by_value
      - .actual_access:  read_only
        .address_space:  global
        .offset:         72
        .size:           8
        .value_kind:     global_buffer
      - .actual_access:  read_only
        .address_space:  global
        .offset:         80
        .size:           8
        .value_kind:     global_buffer
      - .actual_access:  read_only
        .address_space:  global
        .offset:         88
        .size:           8
        .value_kind:     global_buffer
      - .actual_access:  write_only
        .address_space:  global
        .offset:         96
        .size:           8
        .value_kind:     global_buffer
    .group_segment_fixed_size: 0
    .kernarg_segment_align: 8
    .kernarg_segment_size: 104
    .language:       OpenCL C
    .language_version:
      - 2
      - 0
    .max_flat_workgroup_size: 156
    .name:           fft_rtc_back_len1014_factors_13_6_13_wgs_156_tpt_78_sp_op_CI_CI_unitstride_sbrr_R2C_dirReg
    .private_segment_fixed_size: 0
    .sgpr_count:     41
    .sgpr_spill_count: 0
    .symbol:         fft_rtc_back_len1014_factors_13_6_13_wgs_156_tpt_78_sp_op_CI_CI_unitstride_sbrr_R2C_dirReg.kd
    .uniform_work_group_size: 1
    .uses_dynamic_stack: false
    .vgpr_count:     145
    .vgpr_spill_count: 0
    .wavefront_size: 32
    .workgroup_processor_mode: 1
amdhsa.target:   amdgcn-amd-amdhsa--gfx1201
amdhsa.version:
  - 1
  - 2
...

	.end_amdgpu_metadata
